;; amdgpu-corpus repo=ROCm/rocFFT kind=compiled arch=gfx1201 opt=O3
	.text
	.amdgcn_target "amdgcn-amd-amdhsa--gfx1201"
	.amdhsa_code_object_version 6
	.protected	bluestein_single_fwd_len1428_dim1_dp_op_CI_CI ; -- Begin function bluestein_single_fwd_len1428_dim1_dp_op_CI_CI
	.globl	bluestein_single_fwd_len1428_dim1_dp_op_CI_CI
	.p2align	8
	.type	bluestein_single_fwd_len1428_dim1_dp_op_CI_CI,@function
bluestein_single_fwd_len1428_dim1_dp_op_CI_CI: ; @bluestein_single_fwd_len1428_dim1_dp_op_CI_CI
; %bb.0:
	s_load_b128 s[8:11], s[0:1], 0x28
	v_mul_u32_u24_e32 v1, 0x227, v0
	s_mov_b32 s2, exec_lo
	v_mov_b32_e32 v4, 0
	s_delay_alu instid0(VALU_DEP_2) | instskip(NEXT) | instid1(VALU_DEP_1)
	v_lshrrev_b32_e32 v1, 16, v1
	v_add_nc_u32_e32 v3, ttmp9, v1
	s_delay_alu instid0(VALU_DEP_1)
	v_mov_b32_e32 v2, v3
	scratch_store_b64 off, v[2:3], off offset:4 ; 8-byte Folded Spill
	s_wait_kmcnt 0x0
	v_cmpx_gt_u64_e64 s[8:9], v[3:4]
	s_cbranch_execz .LBB0_23
; %bb.1:
	s_clause 0x1
	s_load_b64 s[8:9], s[0:1], 0x0
	s_load_b64 s[12:13], s[0:1], 0x38
	v_mul_lo_u16 v1, 0x77, v1
	s_delay_alu instid0(VALU_DEP_1) | instskip(NEXT) | instid1(VALU_DEP_1)
	v_sub_nc_u16 v0, v0, v1
	v_and_b32_e32 v1, 0xffff, v0
	v_cmp_gt_u16_e32 vcc_lo, 0x54, v0
	s_delay_alu instid0(VALU_DEP_2)
	v_lshlrev_b32_e32 v255, 4, v1
	scratch_store_b32 off, v1, off          ; 4-byte Folded Spill
	s_and_saveexec_b32 s3, vcc_lo
	s_cbranch_execz .LBB0_3
; %bb.2:
	s_clause 0x1
	scratch_load_b64 v[0:1], off, off offset:4
	scratch_load_b32 v4, off, off
	s_load_b64 s[4:5], s[0:1], 0x18
	s_wait_kmcnt 0x0
	s_load_b128 s[4:7], s[4:5], 0x0
	s_wait_loadcnt 0x0
	s_wait_kmcnt 0x0
	v_mad_co_u64_u32 v[32:33], null, s4, v4, 0
	s_delay_alu instid0(VALU_DEP_1) | instskip(NEXT) | instid1(VALU_DEP_1)
	v_dual_mov_b32 v2, v0 :: v_dual_mov_b32 v1, v33
	v_mad_co_u64_u32 v[16:17], null, s6, v2, 0
	s_delay_alu instid0(VALU_DEP_1) | instskip(NEXT) | instid1(VALU_DEP_1)
	v_mov_b32_e32 v0, v17
	v_mad_co_u64_u32 v[2:3], null, s7, v2, v[0:1]
	s_delay_alu instid0(VALU_DEP_1)
	v_mov_b32_e32 v17, v2
	v_mad_co_u64_u32 v[18:19], null, s5, v4, v[1:2]
	s_mul_u64 s[4:5], s[4:5], 0x540
	s_clause 0x3
	global_load_b128 v[0:3], v255, s[8:9]
	global_load_b128 v[4:7], v255, s[8:9] offset:1344
	global_load_b128 v[8:11], v255, s[8:9] offset:2688
	global_load_b128 v[12:15], v255, s[8:9] offset:4032
	v_lshlrev_b64_e32 v[34:35], 4, v[16:17]
	v_mov_b32_e32 v33, v18
	s_clause 0x3
	global_load_b128 v[16:19], v255, s[8:9] offset:5376
	global_load_b128 v[20:23], v255, s[8:9] offset:6720
	;; [unrolled: 1-line block ×4, first 2 shown]
	v_add_co_u32 v42, s2, s10, v34
	s_delay_alu instid0(VALU_DEP_1)
	v_add_co_ci_u32_e64 v43, s2, s11, v35, s2
	v_lshlrev_b64_e32 v[40:41], 4, v[32:33]
	s_clause 0x1
	global_load_b128 v[32:35], v255, s[8:9] offset:10752
	global_load_b128 v[36:39], v255, s[8:9] offset:12096
	v_add_co_u32 v56, s2, v42, v40
	s_wait_alu 0xf1ff
	v_add_co_ci_u32_e64 v57, s2, v43, v41, s2
	s_clause 0x1
	global_load_b128 v[40:43], v255, s[8:9] offset:13440
	global_load_b128 v[44:47], v255, s[8:9] offset:14784
	s_wait_alu 0xfffe
	v_add_co_u32 v60, s2, v56, s4
	s_wait_alu 0xf1ff
	v_add_co_ci_u32_e64 v61, s2, s5, v57, s2
	s_clause 0x1
	global_load_b128 v[48:51], v255, s[8:9] offset:16128
	global_load_b128 v[52:55], v255, s[8:9] offset:17472
	v_add_co_u32 v64, s2, v60, s4
	s_wait_alu 0xf1ff
	v_add_co_ci_u32_e64 v65, s2, s5, v61, s2
	s_clause 0x1
	global_load_b128 v[56:59], v[56:57], off
	global_load_b128 v[60:63], v[60:61], off
	v_add_co_u32 v68, s2, v64, s4
	s_wait_alu 0xf1ff
	v_add_co_ci_u32_e64 v69, s2, s5, v65, s2
	s_delay_alu instid0(VALU_DEP_2) | instskip(SKIP_1) | instid1(VALU_DEP_2)
	v_add_co_u32 v72, s2, v68, s4
	s_wait_alu 0xf1ff
	v_add_co_ci_u32_e64 v73, s2, s5, v69, s2
	s_clause 0x1
	global_load_b128 v[64:67], v[64:65], off
	global_load_b128 v[68:71], v[68:69], off
	v_add_co_u32 v76, s2, v72, s4
	s_wait_alu 0xf1ff
	v_add_co_ci_u32_e64 v77, s2, s5, v73, s2
	global_load_b128 v[72:75], v[72:73], off
	v_add_co_u32 v80, s2, v76, s4
	s_wait_alu 0xf1ff
	v_add_co_ci_u32_e64 v81, s2, s5, v77, s2
	;; [unrolled: 4-line block ×12, first 2 shown]
	s_clause 0x1
	global_load_b128 v[116:119], v255, s[8:9] offset:18816
	global_load_b128 v[120:123], v255, s[8:9] offset:20160
	global_load_b128 v[124:127], v[124:125], off
	global_load_b128 v[128:131], v255, s[8:9] offset:21504
	global_load_b128 v[132:135], v[132:133], off
	s_wait_loadcnt 0x13
	v_mul_f64_e32 v[136:137], v[58:59], v[2:3]
	v_mul_f64_e32 v[2:3], v[56:57], v[2:3]
	s_wait_loadcnt 0x12
	v_mul_f64_e32 v[138:139], v[62:63], v[6:7]
	v_mul_f64_e32 v[6:7], v[60:61], v[6:7]
	;; [unrolled: 3-line block ×14, first 2 shown]
	v_fma_f64 v[54:55], v[56:57], v[0:1], v[136:137]
	v_fma_f64 v[56:57], v[58:59], v[0:1], -v[2:3]
	v_fma_f64 v[0:1], v[60:61], v[4:5], v[138:139]
	v_fma_f64 v[2:3], v[62:63], v[4:5], -v[6:7]
	s_wait_loadcnt 0x4
	v_mul_f64_e32 v[166:167], v[114:115], v[118:119]
	v_mul_f64_e32 v[118:119], v[112:113], v[118:119]
	s_wait_loadcnt 0x2
	v_mul_f64_e32 v[168:169], v[126:127], v[122:123]
	v_mul_f64_e32 v[122:123], v[124:125], v[122:123]
	;; [unrolled: 3-line block ×3, first 2 shown]
	v_fma_f64 v[4:5], v[64:65], v[8:9], v[140:141]
	v_fma_f64 v[6:7], v[66:67], v[8:9], -v[10:11]
	v_fma_f64 v[8:9], v[68:69], v[12:13], v[142:143]
	v_fma_f64 v[10:11], v[70:71], v[12:13], -v[14:15]
	v_fma_f64 v[12:13], v[72:73], v[16:17], v[144:145]
	v_fma_f64 v[14:15], v[74:75], v[16:17], -v[18:19]
	v_fma_f64 v[16:17], v[76:77], v[20:21], v[146:147]
	v_fma_f64 v[18:19], v[78:79], v[20:21], -v[22:23]
	v_fma_f64 v[20:21], v[80:81], v[24:25], v[148:149]
	v_fma_f64 v[22:23], v[82:83], v[24:25], -v[26:27]
	v_fma_f64 v[24:25], v[84:85], v[28:29], v[150:151]
	v_fma_f64 v[26:27], v[86:87], v[28:29], -v[30:31]
	v_fma_f64 v[28:29], v[88:89], v[32:33], v[152:153]
	v_fma_f64 v[30:31], v[90:91], v[32:33], -v[34:35]
	v_fma_f64 v[32:33], v[92:93], v[36:37], v[154:155]
	v_fma_f64 v[34:35], v[94:95], v[36:37], -v[38:39]
	v_fma_f64 v[36:37], v[96:97], v[40:41], v[156:157]
	v_fma_f64 v[38:39], v[98:99], v[40:41], -v[42:43]
	v_fma_f64 v[40:41], v[100:101], v[44:45], v[158:159]
	v_fma_f64 v[42:43], v[102:103], v[44:45], -v[46:47]
	v_fma_f64 v[44:45], v[104:105], v[48:49], v[160:161]
	v_fma_f64 v[46:47], v[106:107], v[48:49], -v[50:51]
	v_fma_f64 v[48:49], v[108:109], v[52:53], v[162:163]
	v_fma_f64 v[50:51], v[110:111], v[52:53], -v[164:165]
	v_fma_f64 v[58:59], v[112:113], v[116:117], v[166:167]
	v_fma_f64 v[60:61], v[114:115], v[116:117], -v[118:119]
	v_fma_f64 v[62:63], v[124:125], v[120:121], v[168:169]
	v_fma_f64 v[64:65], v[126:127], v[120:121], -v[122:123]
	v_fma_f64 v[66:67], v[132:133], v[128:129], v[170:171]
	v_fma_f64 v[68:69], v[134:135], v[128:129], -v[130:131]
	ds_store_b128 v255, v[54:57]
	ds_store_b128 v255, v[0:3] offset:1344
	ds_store_b128 v255, v[4:7] offset:2688
	;; [unrolled: 1-line block ×16, first 2 shown]
.LBB0_3:
	s_or_b32 exec_lo, exec_lo, s3
	s_clause 0x1
	s_load_b64 s[4:5], s[0:1], 0x20
	s_load_b64 s[2:3], s[0:1], 0x8
	global_wb scope:SCOPE_SE
	s_wait_storecnt_dscnt 0x0
	s_wait_kmcnt 0x0
	s_barrier_signal -1
	s_barrier_wait -1
	global_inv scope:SCOPE_SE
                                        ; implicit-def: $vgpr12_vgpr13
                                        ; implicit-def: $vgpr28_vgpr29
                                        ; implicit-def: $vgpr32_vgpr33
                                        ; implicit-def: $vgpr36_vgpr37
                                        ; implicit-def: $vgpr40_vgpr41
                                        ; implicit-def: $vgpr44_vgpr45
                                        ; implicit-def: $vgpr48_vgpr49
                                        ; implicit-def: $vgpr52_vgpr53
                                        ; implicit-def: $vgpr64_vgpr65
                                        ; implicit-def: $vgpr68_vgpr69
                                        ; implicit-def: $vgpr76_vgpr77
                                        ; implicit-def: $vgpr80_vgpr81
                                        ; implicit-def: $vgpr84_vgpr85
                                        ; implicit-def: $vgpr56_vgpr57
                                        ; implicit-def: $vgpr24_vgpr25
                                        ; implicit-def: $vgpr20_vgpr21
                                        ; implicit-def: $vgpr16_vgpr17
	s_and_saveexec_b32 s0, vcc_lo
	s_cbranch_execz .LBB0_5
; %bb.4:
	ds_load_b128 v[12:15], v255
	ds_load_b128 v[28:31], v255 offset:1344
	ds_load_b128 v[32:35], v255 offset:2688
	;; [unrolled: 1-line block ×16, first 2 shown]
.LBB0_5:
	s_wait_alu 0xfffe
	s_or_b32 exec_lo, exec_lo, s0
	s_wait_dscnt 0x0
	v_add_f64_e64 v[162:163], v[30:31], -v[18:19]
	v_add_f64_e64 v[102:103], v[34:35], -v[22:23]
	s_mov_b32 s0, 0x5d8e7cdc
	s_mov_b32 s14, 0x2a9d6da3
	;; [unrolled: 1-line block ×4, first 2 shown]
	v_add_f64_e32 v[156:157], v[28:29], v[16:17]
	v_add_f64_e64 v[100:101], v[32:33], -v[20:21]
	s_mov_b32 s6, 0x370991
	s_mov_b32 s7, 0x3fedd6d0
	v_add_f64_e32 v[88:89], v[32:33], v[20:21]
	s_mov_b32 s10, 0x75d4884
	s_mov_b32 s11, 0x3fe7a5f6
	v_add_f64_e64 v[182:183], v[28:29], -v[16:17]
	v_add_f64_e32 v[178:179], v[30:31], v[18:19]
	v_add_f64_e32 v[96:97], v[34:35], v[22:23]
	v_add_f64_e64 v[114:115], v[38:39], -v[26:27]
	s_mov_b32 s18, 0x7c9e640b
	s_mov_b32 s19, 0xbfeca52d
	v_add_f64_e32 v[92:93], v[36:37], v[24:25]
	s_mov_b32 s16, 0x2b2883cd
	s_mov_b32 s54, 0x6c9a05f6
	;; [unrolled: 1-line block ×4, first 2 shown]
	v_add_f64_e64 v[112:113], v[36:37], -v[24:25]
	v_add_f64_e32 v[108:109], v[38:39], v[26:27]
	v_add_f64_e64 v[124:125], v[42:43], -v[58:59]
	s_mov_b32 s22, 0xeb564b22
	s_mov_b32 s23, 0xbfefdd0d
	v_add_f64_e32 v[104:105], v[40:41], v[56:57]
	s_mov_b32 s20, 0x3259b75e
	s_mov_b32 s21, 0x3fb79ee6
	v_add_f64_e64 v[126:127], v[40:41], -v[56:57]
	v_add_f64_e32 v[120:121], v[42:43], v[58:59]
	v_add_f64_e64 v[136:137], v[46:47], -v[86:87]
	s_mov_b32 s26, 0x923c349f
	s_mov_b32 s27, 0xbfeec746
	v_add_f64_e32 v[116:117], v[44:45], v[84:85]
	s_wait_alu 0xfffe
	v_mul_f64_e32 v[0:1], s[0:1], v[162:163]
	v_mul_f64_e32 v[2:3], s[14:15], v[102:103]
	s_mov_b32 s24, 0xc61f0d01
	s_mov_b32 s25, 0xbfd183b1
	v_add_f64_e64 v[142:143], v[44:45], -v[84:85]
	v_add_f64_e32 v[132:133], v[46:47], v[86:87]
	v_add_f64_e64 v[168:169], v[50:51], -v[82:83]
	v_mul_f64_e32 v[4:5], s[14:15], v[100:101]
	v_mul_f64_e32 v[60:61], s[54:55], v[100:101]
	v_add_f64_e32 v[128:129], v[48:49], v[80:81]
	s_mov_b32 s28, 0x6ed5f1bb
	s_mov_b32 s29, 0xbfe348c8
	v_add_f64_e64 v[160:161], v[48:49], -v[80:81]
	v_add_f64_e32 v[144:145], v[50:51], v[82:83]
	v_add_f64_e64 v[172:173], v[54:55], -v[78:79]
	s_mov_b32 s36, 0x4363dd80
	s_mov_b32 s37, 0x3fe0d888
	;; [unrolled: 1-line block ×4, first 2 shown]
	v_add_f64_e32 v[138:139], v[52:53], v[76:77]
	s_mov_b32 s30, 0x910ea3b9
	s_mov_b32 s31, 0xbfeb34fa
	v_add_f64_e64 v[170:171], v[52:53], -v[76:77]
	v_add_f64_e32 v[152:153], v[54:55], v[78:79]
	v_add_f64_e64 v[176:177], v[66:67], -v[70:71]
	s_mov_b32 s38, 0xacd6c6b4
	s_mov_b32 s39, 0xbfc7851a
	v_add_f64_e32 v[148:149], v[64:65], v[68:69]
	s_mov_b32 s34, 0x7faef3
	s_mov_b32 s35, 0xbfef7484
	v_add_f64_e64 v[174:175], v[64:65], -v[68:69]
	v_add_f64_e32 v[164:165], v[66:67], v[70:71]
	v_mul_f64_e32 v[194:195], s[14:15], v[162:163]
	v_mul_f64_e32 v[10:11], s[54:55], v[102:103]
	v_mul_f64_e32 v[196:197], s[14:15], v[182:183]
	s_mov_b32 s51, 0x3feec746
	s_mov_b32 s50, s26
	;; [unrolled: 1-line block ×4, first 2 shown]
	s_clause 0x1
	scratch_store_b64 off, v[2:3], off offset:28
	scratch_store_b64 off, v[0:1], off offset:220
	v_fma_f64 v[0:1], v[156:157], s[6:7], v[0:1]
	v_fma_f64 v[2:3], v[88:89], s[10:11], v[2:3]
	v_mul_f64_e32 v[217:218], s[36:37], v[142:143]
	v_mul_f64_e32 v[215:216], s[50:51], v[168:169]
	scratch_store_b64 off, v[4:5], off offset:60 ; 8-byte Folded Spill
	v_fma_f64 v[4:5], v[96:97], s[10:11], -v[4:5]
	s_mov_b32 s43, 0x3fd71e95
	s_mov_b32 s42, s0
	v_mul_f64_e32 v[198:199], s[18:19], v[162:163]
	v_mul_f64_e32 v[237:238], s[50:51], v[160:161]
	;; [unrolled: 1-line block ×3, first 2 shown]
	s_mov_b32 s47, 0x3fc7851a
	s_mov_b32 s46, s38
	v_mul_f64_e32 v[239:240], s[50:51], v[126:127]
	v_mul_f64_e32 v[223:224], s[46:47], v[112:113]
	s_mov_b32 s49, 0x3fe58eea
	s_mov_b32 s48, s14
	v_mul_f64_e32 v[253:254], s[0:1], v[168:169]
	v_mul_f64_e32 v[235:236], s[48:49], v[136:137]
	;; [unrolled: 1-line block ×21, first 2 shown]
	v_add_f64_e32 v[0:1], v[12:13], v[0:1]
	s_mov_b32 s53, 0x3fe9895b
	s_mov_b32 s52, s54
	v_mul_f64_e32 v[249:250], s[48:49], v[176:177]
	v_mul_f64_e32 v[94:95], s[52:53], v[172:173]
	;; [unrolled: 1-line block ×14, first 2 shown]
	s_mov_b32 s57, 0x3fefdd0d
	s_mov_b32 s56, s22
	v_mul_f64_e32 v[140:141], s[0:1], v[172:173]
	v_mul_f64_e32 v[186:187], s[56:57], v[168:169]
	v_mul_f64_e32 v[192:193], s[56:57], v[160:161]
	v_mul_f64_e32 v[184:185], s[0:1], v[170:171]
	scratch_store_b64 off, v[60:61], off offset:388 ; 8-byte Folded Spill
	v_fma_f64 v[60:61], v[96:97], s[28:29], -v[60:61]
	v_fma_f64 v[62:63], v[88:89], s[34:35], v[213:214]
	scratch_store_b64 off, v[10:11], off offset:292 ; 8-byte Folded Spill
	v_fma_f64 v[10:11], v[88:89], s[28:29], v[10:11]
	v_fma_f64 v[72:73], v[96:97], s[34:35], -v[233:234]
	v_add_f64_e32 v[0:1], v[2:3], v[0:1]
	v_mul_f64_e32 v[2:3], s[0:1], v[182:183]
	v_fma_f64 v[74:75], v[88:89], s[30:31], v[229:230]
	v_fma_f64 v[130:131], v[96:97], s[30:31], -v[90:91]
	scratch_store_b64 off, v[2:3], off offset:252 ; 8-byte Folded Spill
	v_fma_f64 v[2:3], v[178:179], s[6:7], -v[2:3]
	s_delay_alu instid0(VALU_DEP_1) | instskip(NEXT) | instid1(VALU_DEP_1)
	v_add_f64_e32 v[2:3], v[14:15], v[2:3]
	v_add_f64_e32 v[2:3], v[4:5], v[2:3]
	v_mul_f64_e32 v[4:5], s[18:19], v[114:115]
	scratch_store_b64 off, v[4:5], off offset:44 ; 8-byte Folded Spill
	v_fma_f64 v[4:5], v[92:93], s[16:17], v[4:5]
	s_delay_alu instid0(VALU_DEP_1) | instskip(SKIP_3) | instid1(VALU_DEP_1)
	v_add_f64_e32 v[0:1], v[4:5], v[0:1]
	v_mul_f64_e32 v[4:5], s[18:19], v[112:113]
	scratch_store_b64 off, v[4:5], off offset:92 ; 8-byte Folded Spill
	v_fma_f64 v[4:5], v[108:109], s[16:17], -v[4:5]
	v_add_f64_e32 v[2:3], v[4:5], v[2:3]
	v_mul_f64_e32 v[4:5], s[22:23], v[124:125]
	scratch_store_b64 off, v[4:5], off offset:76 ; 8-byte Folded Spill
	v_fma_f64 v[4:5], v[104:105], s[20:21], v[4:5]
	s_delay_alu instid0(VALU_DEP_1) | instskip(SKIP_3) | instid1(VALU_DEP_1)
	v_add_f64_e32 v[0:1], v[4:5], v[0:1]
	v_mul_f64_e32 v[4:5], s[22:23], v[126:127]
	scratch_store_b64 off, v[4:5], off offset:124 ; 8-byte Folded Spill
	v_fma_f64 v[4:5], v[120:121], s[20:21], -v[4:5]
	v_add_f64_e32 v[2:3], v[4:5], v[2:3]
	v_mul_f64_e32 v[4:5], s[26:27], v[136:137]
	scratch_store_b64 off, v[4:5], off offset:108 ; 8-byte Folded Spill
	v_fma_f64 v[4:5], v[116:117], s[24:25], v[4:5]
	s_delay_alu instid0(VALU_DEP_1) | instskip(SKIP_3) | instid1(VALU_DEP_1)
	v_add_f64_e32 v[0:1], v[4:5], v[0:1]
	v_mul_f64_e32 v[4:5], s[26:27], v[142:143]
	scratch_store_b64 off, v[4:5], off offset:156 ; 8-byte Folded Spill
	v_fma_f64 v[4:5], v[132:133], s[24:25], -v[4:5]
	v_add_f64_e32 v[2:3], v[4:5], v[2:3]
	v_mul_f64_e32 v[4:5], s[54:55], v[168:169]
	scratch_store_b64 off, v[4:5], off offset:140 ; 8-byte Folded Spill
	v_fma_f64 v[4:5], v[128:129], s[28:29], v[4:5]
	s_delay_alu instid0(VALU_DEP_1) | instskip(SKIP_3) | instid1(VALU_DEP_1)
	v_add_f64_e32 v[0:1], v[4:5], v[0:1]
	v_mul_f64_e32 v[4:5], s[54:55], v[160:161]
	scratch_store_b64 off, v[4:5], off offset:180 ; 8-byte Folded Spill
	v_fma_f64 v[4:5], v[144:145], s[28:29], -v[4:5]
	v_add_f64_e32 v[2:3], v[4:5], v[2:3]
	v_mul_f64_e32 v[4:5], s[40:41], v[172:173]
	scratch_store_b64 off, v[4:5], off offset:172 ; 8-byte Folded Spill
	v_fma_f64 v[4:5], v[138:139], s[30:31], v[4:5]
	s_delay_alu instid0(VALU_DEP_1) | instskip(SKIP_3) | instid1(VALU_DEP_1)
	v_add_f64_e32 v[0:1], v[4:5], v[0:1]
	v_mul_f64_e32 v[4:5], s[40:41], v[170:171]
	scratch_store_b64 off, v[4:5], off offset:204 ; 8-byte Folded Spill
	v_fma_f64 v[4:5], v[152:153], s[30:31], -v[4:5]
	v_add_f64_e32 v[2:3], v[4:5], v[2:3]
	v_mul_f64_e32 v[4:5], s[38:39], v[176:177]
	scratch_store_b64 off, v[4:5], off offset:188 ; 8-byte Folded Spill
	v_fma_f64 v[4:5], v[148:149], s[34:35], v[4:5]
	s_delay_alu instid0(VALU_DEP_1) | instskip(SKIP_3) | instid1(VALU_DEP_1)
	v_add_f64_e32 v[0:1], v[4:5], v[0:1]
	v_mul_f64_e32 v[4:5], s[38:39], v[174:175]
	scratch_store_b64 off, v[4:5], off offset:236 ; 8-byte Folded Spill
	v_fma_f64 v[4:5], v[164:165], s[34:35], -v[4:5]
	v_add_f64_e32 v[2:3], v[4:5], v[2:3]
	v_fma_f64 v[4:5], v[156:157], s[10:11], v[194:195]
	scratch_store_b128 off, v[0:3], off offset:12 ; 16-byte Folded Spill
	v_mul_f64_e32 v[2:3], s[22:23], v[102:103]
	v_add_f64_e32 v[4:5], v[12:13], v[4:5]
	v_mul_f64_e32 v[0:1], s[22:23], v[100:101]
	s_delay_alu instid0(VALU_DEP_3)
	v_fma_f64 v[6:7], v[88:89], s[20:21], v[2:3]
	scratch_store_b64 off, v[0:1], off offset:284 ; 8-byte Folded Spill
	v_fma_f64 v[8:9], v[96:97], s[20:21], -v[0:1]
	v_mul_f64_e32 v[0:1], s[54:55], v[114:115]
	v_add_f64_e32 v[4:5], v[6:7], v[4:5]
	v_fma_f64 v[6:7], v[178:179], s[10:11], -v[196:197]
	s_delay_alu instid0(VALU_DEP_1) | instskip(NEXT) | instid1(VALU_DEP_1)
	v_add_f64_e32 v[6:7], v[14:15], v[6:7]
	v_add_f64_e32 v[6:7], v[8:9], v[6:7]
	v_fma_f64 v[8:9], v[92:93], s[28:29], v[0:1]
	s_delay_alu instid0(VALU_DEP_1) | instskip(SKIP_3) | instid1(VALU_DEP_1)
	v_add_f64_e32 v[4:5], v[8:9], v[4:5]
	v_mul_f64_e32 v[8:9], s[54:55], v[112:113]
	scratch_store_b64 off, v[8:9], off offset:300 ; 8-byte Folded Spill
	v_fma_f64 v[8:9], v[108:109], s[28:29], -v[8:9]
	v_add_f64_e32 v[6:7], v[8:9], v[6:7]
	v_mul_f64_e32 v[8:9], s[38:39], v[124:125]
	scratch_store_b64 off, v[8:9], off offset:268 ; 8-byte Folded Spill
	v_fma_f64 v[8:9], v[104:105], s[34:35], v[8:9]
	s_delay_alu instid0(VALU_DEP_1) | instskip(SKIP_3) | instid1(VALU_DEP_1)
	v_add_f64_e32 v[4:5], v[8:9], v[4:5]
	v_mul_f64_e32 v[8:9], s[38:39], v[126:127]
	scratch_store_b64 off, v[8:9], off offset:348 ; 8-byte Folded Spill
	v_fma_f64 v[8:9], v[120:121], s[34:35], -v[8:9]
	v_add_f64_e32 v[6:7], v[8:9], v[6:7]
	v_mul_f64_e32 v[8:9], s[36:37], v[136:137]
	scratch_store_b64 off, v[8:9], off offset:308 ; 8-byte Folded Spill
	v_fma_f64 v[8:9], v[116:117], s[30:31], v[8:9]
	s_delay_alu instid0(VALU_DEP_1) | instskip(SKIP_1) | instid1(VALU_DEP_1)
	v_add_f64_e32 v[4:5], v[8:9], v[4:5]
	v_fma_f64 v[8:9], v[132:133], s[30:31], -v[217:218]
	v_add_f64_e32 v[6:7], v[8:9], v[6:7]
	v_fma_f64 v[8:9], v[128:129], s[24:25], v[215:216]
	s_delay_alu instid0(VALU_DEP_1) | instskip(SKIP_1) | instid1(VALU_DEP_1)
	v_add_f64_e32 v[4:5], v[8:9], v[4:5]
	v_fma_f64 v[8:9], v[144:145], s[24:25], -v[237:238]
	v_add_f64_e32 v[6:7], v[8:9], v[6:7]
	v_mul_f64_e32 v[8:9], s[44:45], v[172:173]
	scratch_store_b64 off, v[8:9], off offset:316 ; 8-byte Folded Spill
	v_fma_f64 v[8:9], v[138:139], s[16:17], v[8:9]
	s_delay_alu instid0(VALU_DEP_1) | instskip(SKIP_3) | instid1(VALU_DEP_1)
	v_add_f64_e32 v[4:5], v[8:9], v[4:5]
	v_mul_f64_e32 v[8:9], s[44:45], v[170:171]
	scratch_store_b64 off, v[8:9], off offset:372 ; 8-byte Folded Spill
	v_fma_f64 v[8:9], v[152:153], s[16:17], -v[8:9]
	v_add_f64_e32 v[6:7], v[8:9], v[6:7]
	v_mul_f64_e32 v[8:9], s[42:43], v[176:177]
	scratch_store_b64 off, v[8:9], off offset:324 ; 8-byte Folded Spill
	v_fma_f64 v[8:9], v[148:149], s[6:7], v[8:9]
	s_delay_alu instid0(VALU_DEP_1) | instskip(SKIP_1) | instid1(VALU_DEP_1)
	v_add_f64_e32 v[4:5], v[8:9], v[4:5]
	v_fma_f64 v[8:9], v[164:165], s[6:7], -v[219:220]
	v_add_f64_e32 v[6:7], v[8:9], v[6:7]
	v_fma_f64 v[8:9], v[156:157], s[16:17], v[198:199]
	s_delay_alu instid0(VALU_DEP_1) | instskip(NEXT) | instid1(VALU_DEP_1)
	v_add_f64_e32 v[8:9], v[12:13], v[8:9]
	v_add_f64_e32 v[8:9], v[10:11], v[8:9]
	v_fma_f64 v[10:11], v[178:179], s[16:17], -v[200:201]
	s_delay_alu instid0(VALU_DEP_1) | instskip(NEXT) | instid1(VALU_DEP_1)
	v_add_f64_e32 v[10:11], v[14:15], v[10:11]
	v_add_f64_e32 v[10:11], v[60:61], v[10:11]
	v_mul_f64_e32 v[60:61], s[46:47], v[114:115]
	scratch_store_b64 off, v[60:61], off offset:340 ; 8-byte Folded Spill
	v_fma_f64 v[60:61], v[92:93], s[34:35], v[60:61]
	s_delay_alu instid0(VALU_DEP_1) | instskip(SKIP_1) | instid1(VALU_DEP_1)
	v_add_f64_e32 v[8:9], v[60:61], v[8:9]
	v_fma_f64 v[60:61], v[108:109], s[34:35], -v[223:224]
	v_add_f64_e32 v[10:11], v[60:61], v[10:11]
	v_mul_f64_e32 v[60:61], s[50:51], v[124:125]
	scratch_store_b64 off, v[60:61], off offset:356 ; 8-byte Folded Spill
	v_fma_f64 v[60:61], v[104:105], s[24:25], v[60:61]
	global_wb scope:SCOPE_SE
	s_wait_storecnt 0x0
	s_barrier_signal -1
	s_barrier_wait -1
	global_inv scope:SCOPE_SE
	v_add_f64_e32 v[8:9], v[60:61], v[8:9]
	v_fma_f64 v[60:61], v[120:121], s[24:25], -v[239:240]
	s_delay_alu instid0(VALU_DEP_1) | instskip(SKIP_1) | instid1(VALU_DEP_1)
	v_add_f64_e32 v[10:11], v[60:61], v[10:11]
	v_fma_f64 v[60:61], v[116:117], s[10:11], v[235:236]
	v_add_f64_e32 v[8:9], v[60:61], v[8:9]
	v_fma_f64 v[60:61], v[132:133], s[10:11], -v[106:107]
	s_delay_alu instid0(VALU_DEP_1) | instskip(SKIP_1) | instid1(VALU_DEP_1)
	v_add_f64_e32 v[10:11], v[60:61], v[10:11]
	v_fma_f64 v[60:61], v[128:129], s[6:7], v[253:254]
	v_add_f64_e32 v[8:9], v[60:61], v[8:9]
	v_fma_f64 v[60:61], v[144:145], s[6:7], -v[154:155]
	s_delay_alu instid0(VALU_DEP_1) | instskip(SKIP_1) | instid1(VALU_DEP_1)
	v_add_f64_e32 v[10:11], v[60:61], v[10:11]
	v_fma_f64 v[60:61], v[138:139], s[20:21], v[227:228]
	v_add_f64_e32 v[8:9], v[60:61], v[8:9]
	v_fma_f64 v[60:61], v[152:153], s[20:21], -v[241:242]
	s_delay_alu instid0(VALU_DEP_1) | instskip(SKIP_1) | instid1(VALU_DEP_1)
	v_add_f64_e32 v[10:11], v[60:61], v[10:11]
	v_fma_f64 v[60:61], v[148:149], s[30:31], v[221:222]
	v_add_f64_e32 v[8:9], v[60:61], v[8:9]
	v_fma_f64 v[60:61], v[164:165], s[30:31], -v[243:244]
	s_delay_alu instid0(VALU_DEP_1) | instskip(SKIP_1) | instid1(VALU_DEP_1)
	v_add_f64_e32 v[10:11], v[60:61], v[10:11]
	v_fma_f64 v[60:61], v[156:157], s[20:21], v[202:203]
	v_add_f64_e32 v[60:61], v[12:13], v[60:61]
	s_delay_alu instid0(VALU_DEP_1) | instskip(SKIP_1) | instid1(VALU_DEP_1)
	v_add_f64_e32 v[60:61], v[62:63], v[60:61]
	v_fma_f64 v[62:63], v[178:179], s[20:21], -v[204:205]
	v_add_f64_e32 v[62:63], v[14:15], v[62:63]
	s_delay_alu instid0(VALU_DEP_1) | instskip(SKIP_1) | instid1(VALU_DEP_1)
	v_add_f64_e32 v[62:63], v[72:73], v[62:63]
	v_fma_f64 v[72:73], v[92:93], s[24:25], v[225:226]
	v_add_f64_e32 v[60:61], v[72:73], v[60:61]
	v_fma_f64 v[72:73], v[108:109], s[24:25], -v[251:252]
	s_delay_alu instid0(VALU_DEP_1) | instskip(SKIP_1) | instid1(VALU_DEP_1)
	v_add_f64_e32 v[62:63], v[72:73], v[62:63]
	v_fma_f64 v[72:73], v[104:105], s[6:7], v[231:232]
	v_add_f64_e32 v[60:61], v[72:73], v[60:61]
	v_fma_f64 v[72:73], v[120:121], s[6:7], -v[118:119]
	;; [unrolled: 5-line block ×6, first 2 shown]
	s_delay_alu instid0(VALU_DEP_1) | instskip(SKIP_1) | instid1(VALU_DEP_1)
	v_add_f64_e32 v[62:63], v[72:73], v[62:63]
	v_fma_f64 v[72:73], v[156:157], s[24:25], v[206:207]
	v_add_f64_e32 v[72:73], v[12:13], v[72:73]
	s_delay_alu instid0(VALU_DEP_1) | instskip(SKIP_1) | instid1(VALU_DEP_1)
	v_add_f64_e32 v[72:73], v[74:75], v[72:73]
	v_fma_f64 v[74:75], v[178:179], s[24:25], -v[208:209]
	v_add_f64_e32 v[74:75], v[14:15], v[74:75]
	s_delay_alu instid0(VALU_DEP_1) | instskip(SKIP_1) | instid1(VALU_DEP_1)
	v_add_f64_e32 v[74:75], v[130:131], v[74:75]
	v_fma_f64 v[130:131], v[92:93], s[10:11], v[245:246]
	v_add_f64_e32 v[72:73], v[130:131], v[72:73]
	v_fma_f64 v[130:131], v[108:109], s[10:11], -v[134:135]
	s_delay_alu instid0(VALU_DEP_1) | instskip(SKIP_1) | instid1(VALU_DEP_1)
	v_add_f64_e32 v[74:75], v[130:131], v[74:75]
	v_fma_f64 v[130:131], v[104:105], s[16:17], v[247:248]
	v_add_f64_e32 v[72:73], v[130:131], v[72:73]
	v_fma_f64 v[130:131], v[120:121], s[16:17], -v[180:181]
	;; [unrolled: 5-line block ×5, first 2 shown]
	s_delay_alu instid0(VALU_DEP_1) | instskip(SKIP_1) | instid1(VALU_DEP_1)
	v_add_f64_e32 v[74:75], v[130:131], v[74:75]
	v_mul_f64_e32 v[130:131], s[54:55], v[176:177]
	v_fma_f64 v[166:167], v[148:149], s[28:29], v[130:131]
	s_delay_alu instid0(VALU_DEP_1) | instskip(SKIP_1) | instid1(VALU_DEP_1)
	v_add_f64_e32 v[72:73], v[166:167], v[72:73]
	v_mul_f64_e32 v[166:167], s[54:55], v[174:175]
	v_fma_f64 v[210:211], v[164:165], s[28:29], -v[166:167]
	s_delay_alu instid0(VALU_DEP_1)
	v_add_f64_e32 v[74:75], v[210:211], v[74:75]
	s_and_saveexec_b32 s33, vcc_lo
	s_cbranch_execz .LBB0_7
; %bb.6:
	v_dual_mov_b32 v211, v3 :: v_dual_mov_b32 v210, v2
	v_dual_mov_b32 v3, v1 :: v_dual_mov_b32 v2, v0
	scratch_load_b64 v[0:1], off, off offset:252 th:TH_LOAD_LU ; 8-byte Folded Reload
	v_add_f64_e32 v[28:29], v[12:13], v[28:29]
	v_add_f64_e32 v[30:31], v[14:15], v[30:31]
	s_delay_alu instid0(VALU_DEP_2) | instskip(NEXT) | instid1(VALU_DEP_2)
	v_add_f64_e32 v[28:29], v[28:29], v[32:33]
	v_add_f64_e32 v[30:31], v[30:31], v[34:35]
	v_mul_f64_e32 v[32:33], s[24:25], v[178:179]
	v_mul_f64_e32 v[34:35], s[24:25], v[156:157]
	s_delay_alu instid0(VALU_DEP_4) | instskip(NEXT) | instid1(VALU_DEP_4)
	v_add_f64_e32 v[28:29], v[28:29], v[36:37]
	v_add_f64_e32 v[30:31], v[30:31], v[38:39]
	v_mul_f64_e32 v[38:39], s[20:21], v[156:157]
	v_add_f64_e32 v[32:33], v[208:209], v[32:33]
	v_add_f64_e64 v[34:35], v[34:35], -v[206:207]
	v_mul_f64_e32 v[36:37], s[20:21], v[178:179]
	v_mul_f64_e32 v[206:207], s[30:31], v[116:117]
	v_mul_f64_e32 v[208:209], s[20:21], v[88:89]
	v_add_f64_e32 v[28:29], v[28:29], v[40:41]
	v_add_f64_e32 v[30:31], v[30:31], v[42:43]
	v_mul_f64_e32 v[40:41], s[16:17], v[178:179]
	v_mul_f64_e32 v[42:43], s[16:17], v[156:157]
	v_add_f64_e64 v[38:39], v[38:39], -v[202:203]
	v_add_f64_e32 v[36:37], v[204:205], v[36:37]
	v_mul_f64_e32 v[202:203], s[20:21], v[96:97]
	v_add_f64_e64 v[208:209], v[208:209], -v[210:211]
	v_mul_f64_e32 v[210:211], s[28:29], v[92:93]
	v_mul_f64_e32 v[204:205], s[24:25], v[128:129]
	v_add_f64_e32 v[28:29], v[28:29], v[44:45]
	v_add_f64_e32 v[30:31], v[30:31], v[46:47]
	v_mul_f64_e32 v[46:47], s[10:11], v[156:157]
	v_add_f64_e32 v[40:41], v[200:201], v[40:41]
	v_add_f64_e64 v[42:43], v[42:43], -v[198:199]
	v_mul_f64_e32 v[44:45], s[10:11], v[178:179]
	v_add_f64_e32 v[38:39], v[12:13], v[38:39]
	v_add_f64_e32 v[36:37], v[14:15], v[36:37]
	v_mul_f64_e32 v[198:199], s[24:25], v[164:165]
	v_mul_f64_e32 v[200:201], s[26:27], v[176:177]
	v_add_f64_e64 v[210:211], v[210:211], -v[2:3]
	v_add_f64_e64 v[204:205], v[204:205], -v[215:216]
	v_add_f64_e32 v[28:29], v[28:29], v[48:49]
	v_mul_f64_e32 v[48:49], s[6:7], v[178:179]
	v_add_f64_e32 v[30:31], v[30:31], v[50:51]
	v_mul_f64_e32 v[50:51], s[38:39], v[162:163]
	v_add_f64_e64 v[46:47], v[46:47], -v[194:195]
	v_add_f64_e32 v[44:45], v[196:197], v[44:45]
	v_mul_f64_e32 v[194:195], s[56:57], v[176:177]
	v_mul_f64_e32 v[196:197], s[48:49], v[172:173]
	v_add_f64_e32 v[28:29], v[28:29], v[52:53]
	v_mul_f64_e32 v[52:53], s[40:41], v[162:163]
	v_add_f64_e32 v[30:31], v[30:31], v[54:55]
	v_mul_f64_e32 v[54:55], s[54:55], v[162:163]
	s_delay_alu instid0(VALU_DEP_4) | instskip(NEXT) | instid1(VALU_DEP_3)
	v_add_f64_e32 v[28:29], v[28:29], v[64:65]
	v_add_f64_e32 v[30:31], v[30:31], v[66:67]
	v_mul_f64_e32 v[66:67], s[6:7], v[156:157]
	s_delay_alu instid0(VALU_DEP_4) | instskip(SKIP_3) | instid1(VALU_DEP_4)
	v_fma_f64 v[64:65], v[156:157], s[28:29], v[54:55]
	v_fma_f64 v[54:55], v[156:157], s[28:29], -v[54:55]
	v_add_f64_e32 v[28:29], v[28:29], v[68:69]
	v_add_f64_e32 v[30:31], v[30:31], v[70:71]
	v_add_f64_e32 v[64:65], v[12:13], v[64:65]
	s_delay_alu instid0(VALU_DEP_4)
	v_add_f64_e32 v[54:55], v[12:13], v[54:55]
	s_wait_loadcnt 0x0
	v_add_f64_e32 v[48:49], v[0:1], v[48:49]
	scratch_load_b64 v[0:1], off, off offset:220 th:TH_LOAD_LU ; 8-byte Folded Reload
	v_add_f64_e32 v[28:29], v[28:29], v[76:77]
	v_add_f64_e32 v[30:31], v[30:31], v[78:79]
	;; [unrolled: 1-line block ×4, first 2 shown]
	v_mul_f64_e32 v[40:41], s[30:31], v[108:109]
	v_add_f64_e32 v[28:29], v[28:29], v[80:81]
	v_add_f64_e32 v[80:81], v[12:13], v[34:35]
	v_add_f64_e32 v[30:31], v[30:31], v[82:83]
	v_add_f64_e32 v[34:35], v[12:13], v[42:43]
	v_add_f64_e32 v[82:83], v[14:15], v[48:49]
	v_fma_f64 v[42:43], v[112:113], s[36:37], v[40:41]
	v_add_f64_e32 v[28:29], v[28:29], v[84:85]
	v_add_f64_e32 v[30:31], v[30:31], v[86:87]
	s_delay_alu instid0(VALU_DEP_2) | instskip(SKIP_1) | instid1(VALU_DEP_3)
	v_add_f64_e32 v[28:29], v[28:29], v[56:57]
	v_fma_f64 v[56:57], v[156:157], s[34:35], v[50:51]
	v_add_f64_e32 v[30:31], v[30:31], v[58:59]
	v_fma_f64 v[50:51], v[156:157], s[34:35], -v[50:51]
	v_fma_f64 v[58:59], v[156:157], s[30:31], v[52:53]
	v_fma_f64 v[52:53], v[156:157], s[30:31], -v[52:53]
	v_add_f64_e32 v[24:25], v[28:29], v[24:25]
	v_mul_f64_e32 v[28:29], s[28:29], v[178:179]
	v_add_f64_e32 v[26:27], v[30:31], v[26:27]
	v_add_f64_e32 v[56:57], v[12:13], v[56:57]
	;; [unrolled: 1-line block ×6, first 2 shown]
	v_mul_f64_e32 v[24:25], s[30:31], v[178:179]
	v_add_f64_e32 v[22:23], v[26:27], v[22:23]
	v_fma_f64 v[30:31], v[182:183], s[52:53], v[28:29]
	v_fma_f64 v[28:29], v[182:183], s[54:55], v[28:29]
	v_add_f64_e32 v[16:17], v[20:21], v[16:17]
	v_mul_f64_e32 v[20:21], s[34:35], v[178:179]
	v_fma_f64 v[26:27], v[182:183], s[36:37], v[24:25]
	v_fma_f64 v[24:25], v[182:183], s[40:41], v[24:25]
	v_add_f64_e32 v[18:19], v[22:23], v[18:19]
	v_add_f64_e32 v[70:71], v[14:15], v[30:31]
	;; [unrolled: 1-line block ×5, first 2 shown]
	v_fma_f64 v[22:23], v[182:183], s[46:47], v[20:21]
	v_fma_f64 v[20:21], v[182:183], s[38:39], v[20:21]
	v_add_f64_e32 v[68:69], v[14:15], v[24:25]
	v_mul_f64_e32 v[24:25], s[6:7], v[96:97]
	v_add_f64_e32 v[26:27], v[14:15], v[26:27]
	v_mul_f64_e32 v[182:183], s[20:21], v[164:165]
	v_add_f64_e32 v[30:31], v[208:209], v[30:31]
	s_wait_loadcnt 0x0
	v_add_f64_e64 v[66:67], v[66:67], -v[0:1]
	scratch_load_b64 v[0:1], off, off offset:348 th:TH_LOAD_LU ; 8-byte Folded Reload
	v_add_f64_e32 v[22:23], v[14:15], v[22:23]
	v_add_f64_e32 v[20:21], v[14:15], v[20:21]
	;; [unrolled: 1-line block ×4, first 2 shown]
	v_fma_f64 v[12:13], v[100:101], s[0:1], v[24:25]
	v_fma_f64 v[24:25], v[100:101], s[42:43], v[24:25]
	s_delay_alu instid0(VALU_DEP_2) | instskip(SKIP_1) | instid1(VALU_DEP_3)
	v_add_f64_e32 v[12:13], v[12:13], v[22:23]
	v_mul_f64_e32 v[22:23], s[42:43], v[102:103]
	v_add_f64_e32 v[20:21], v[24:25], v[20:21]
	v_fma_f64 v[24:25], v[112:113], s[40:41], v[40:41]
	v_fma_f64 v[40:41], v[148:149], s[20:21], -v[194:195]
	v_add_f64_e32 v[12:13], v[42:43], v[12:13]
	v_fma_f64 v[14:15], v[88:89], s[6:7], v[22:23]
	v_mul_f64_e32 v[42:43], s[40:41], v[114:115]
	v_fma_f64 v[22:23], v[88:89], s[6:7], -v[22:23]
	v_add_f64_e32 v[20:21], v[24:25], v[20:21]
	s_delay_alu instid0(VALU_DEP_4) | instskip(NEXT) | instid1(VALU_DEP_4)
	v_add_f64_e32 v[14:15], v[14:15], v[56:57]
	v_fma_f64 v[44:45], v[92:93], s[30:31], v[42:43]
	s_delay_alu instid0(VALU_DEP_4)
	v_add_f64_e32 v[22:23], v[22:23], v[50:51]
	v_fma_f64 v[24:25], v[92:93], s[30:31], -v[42:43]
	v_mul_f64_e32 v[50:51], s[44:45], v[102:103]
	v_mul_f64_e32 v[42:43], s[30:31], v[132:133]
	v_add_f64_e32 v[14:15], v[44:45], v[14:15]
	v_mul_f64_e32 v[44:45], s[10:11], v[120:121]
	v_add_f64_e32 v[22:23], v[24:25], v[22:23]
	s_delay_alu instid0(VALU_DEP_4) | instskip(NEXT) | instid1(VALU_DEP_3)
	v_add_f64_e32 v[42:43], v[217:218], v[42:43]
	v_fma_f64 v[46:47], v[126:127], s[14:15], v[44:45]
	v_fma_f64 v[24:25], v[126:127], s[48:49], v[44:45]
	v_mul_f64_e32 v[44:45], s[34:35], v[120:121]
	s_delay_alu instid0(VALU_DEP_3) | instskip(SKIP_1) | instid1(VALU_DEP_4)
	v_add_f64_e32 v[12:13], v[46:47], v[12:13]
	v_mul_f64_e32 v[46:47], s[48:49], v[124:125]
	v_add_f64_e32 v[20:21], v[24:25], v[20:21]
	s_delay_alu instid0(VALU_DEP_2)
	v_fma_f64 v[48:49], v[104:105], s[10:11], v[46:47]
	v_fma_f64 v[24:25], v[104:105], s[10:11], -v[46:47]
	v_mul_f64_e32 v[46:47], s[28:29], v[108:109]
	s_wait_loadcnt 0x0
	v_add_f64_e32 v[44:45], v[0:1], v[44:45]
	scratch_load_b64 v[0:1], off, off offset:300 th:TH_LOAD_LU ; 8-byte Folded Reload
	v_add_f64_e32 v[14:15], v[48:49], v[14:15]
	v_mul_f64_e32 v[48:49], s[28:29], v[132:133]
	v_add_f64_e32 v[22:23], v[24:25], v[22:23]
	s_delay_alu instid0(VALU_DEP_2) | instskip(SKIP_2) | instid1(VALU_DEP_3)
	v_fma_f64 v[56:57], v[142:143], s[52:53], v[48:49]
	v_fma_f64 v[24:25], v[142:143], s[54:55], v[48:49]
	v_mul_f64_e32 v[48:49], s[16:17], v[96:97]
	v_add_f64_e32 v[12:13], v[56:57], v[12:13]
	v_mul_f64_e32 v[56:57], s[54:55], v[136:137]
	s_delay_alu instid0(VALU_DEP_4) | instskip(NEXT) | instid1(VALU_DEP_2)
	v_add_f64_e32 v[20:21], v[24:25], v[20:21]
	v_fma_f64 v[84:85], v[116:117], s[28:29], v[56:57]
	v_fma_f64 v[24:25], v[116:117], s[28:29], -v[56:57]
	v_mul_f64_e32 v[56:57], s[20:21], v[108:109]
	s_delay_alu instid0(VALU_DEP_3) | instskip(SKIP_1) | instid1(VALU_DEP_4)
	v_add_f64_e32 v[14:15], v[84:85], v[14:15]
	v_mul_f64_e32 v[84:85], s[16:17], v[144:145]
	v_add_f64_e32 v[22:23], v[24:25], v[22:23]
	s_delay_alu instid0(VALU_DEP_2) | instskip(SKIP_2) | instid1(VALU_DEP_3)
	v_fma_f64 v[86:87], v[160:161], s[18:19], v[84:85]
	v_fma_f64 v[24:25], v[160:161], s[44:45], v[84:85]
	v_mul_f64_e32 v[84:85], s[28:29], v[120:121]
	v_add_f64_e32 v[12:13], v[86:87], v[12:13]
	v_mul_f64_e32 v[86:87], s[44:45], v[168:169]
	s_delay_alu instid0(VALU_DEP_4) | instskip(NEXT) | instid1(VALU_DEP_2)
	v_add_f64_e32 v[20:21], v[24:25], v[20:21]
	v_fma_f64 v[156:157], v[128:129], s[16:17], v[86:87]
	v_fma_f64 v[24:25], v[128:129], s[16:17], -v[86:87]
	v_mul_f64_e32 v[86:87], s[52:53], v[124:125]
	s_wait_loadcnt 0x0
	v_add_f64_e32 v[46:47], v[0:1], v[46:47]
	scratch_load_b64 v[0:1], off, off offset:284 th:TH_LOAD_LU ; 8-byte Folded Reload
	v_add_f64_e32 v[14:15], v[156:157], v[14:15]
	v_mul_f64_e32 v[156:157], s[24:25], v[152:153]
	v_add_f64_e32 v[22:23], v[24:25], v[22:23]
	s_delay_alu instid0(VALU_DEP_2) | instskip(SKIP_2) | instid1(VALU_DEP_3)
	v_fma_f64 v[162:163], v[170:171], s[50:51], v[156:157]
	v_fma_f64 v[24:25], v[170:171], s[26:27], v[156:157]
	v_mul_f64_e32 v[156:157], s[6:7], v[132:133]
	v_add_f64_e32 v[12:13], v[162:163], v[12:13]
	v_mul_f64_e32 v[162:163], s[26:27], v[172:173]
	s_delay_alu instid0(VALU_DEP_4) | instskip(NEXT) | instid1(VALU_DEP_2)
	v_add_f64_e32 v[20:21], v[24:25], v[20:21]
	v_fma_f64 v[24:25], v[138:139], s[24:25], -v[162:163]
	v_fma_f64 v[178:179], v[138:139], s[24:25], v[162:163]
	v_mul_f64_e32 v[162:163], s[0:1], v[136:137]
	s_delay_alu instid0(VALU_DEP_3) | instskip(SKIP_1) | instid1(VALU_DEP_4)
	v_add_f64_e32 v[24:25], v[24:25], v[22:23]
	v_fma_f64 v[22:23], v[174:175], s[56:57], v[182:183]
	v_add_f64_e32 v[178:179], v[178:179], v[14:15]
	v_fma_f64 v[14:15], v[174:175], s[22:23], v[182:183]
	v_mul_f64_e32 v[182:183], s[38:39], v[168:169]
	s_delay_alu instid0(VALU_DEP_4)
	v_add_f64_e32 v[22:23], v[22:23], v[20:21]
	v_add_f64_e32 v[20:21], v[40:41], v[24:25]
	v_fma_f64 v[24:25], v[100:101], s[18:19], v[48:49]
	v_fma_f64 v[40:41], v[112:113], s[56:57], v[56:57]
	v_add_f64_e32 v[14:15], v[14:15], v[12:13]
	v_fma_f64 v[12:13], v[148:149], s[20:21], v[194:195]
	v_mul_f64_e32 v[194:195], s[10:11], v[152:153]
	v_fma_f64 v[48:49], v[100:101], s[44:45], v[48:49]
	v_add_f64_e32 v[24:25], v[24:25], v[26:27]
	v_fma_f64 v[26:27], v[88:89], s[16:17], v[50:51]
	v_fma_f64 v[50:51], v[88:89], s[16:17], -v[50:51]
	v_add_f64_e32 v[12:13], v[12:13], v[178:179]
	v_mul_f64_e32 v[178:179], s[34:35], v[144:145]
	v_add_f64_e32 v[48:49], v[48:49], v[68:69]
	v_add_f64_e32 v[24:25], v[40:41], v[24:25]
	;; [unrolled: 1-line block ×3, first 2 shown]
	v_mul_f64_e32 v[58:59], s[22:23], v[114:115]
	v_add_f64_e32 v[50:51], v[50:51], v[52:53]
	v_fma_f64 v[52:53], v[112:113], s[22:23], v[56:57]
	v_fma_f64 v[56:57], v[148:149], s[24:25], -v[200:201]
	s_wait_loadcnt 0x0
	v_add_f64_e32 v[202:203], v[0:1], v[202:203]
	scratch_load_b64 v[0:1], off, off offset:308 th:TH_LOAD_LU ; 8-byte Folded Reload
	v_fma_f64 v[40:41], v[92:93], s[20:21], v[58:59]
	v_add_f64_e32 v[48:49], v[52:53], v[48:49]
	v_fma_f64 v[52:53], v[92:93], s[20:21], -v[58:59]
	v_add_f64_e32 v[28:29], v[202:203], v[28:29]
	v_mul_f64_e32 v[202:203], s[34:35], v[104:105]
	v_add_f64_e32 v[26:27], v[40:41], v[26:27]
	v_fma_f64 v[40:41], v[126:127], s[54:55], v[84:85]
	v_add_f64_e32 v[50:51], v[52:53], v[50:51]
	v_fma_f64 v[52:53], v[126:127], s[52:53], v[84:85]
	v_add_f64_e32 v[28:29], v[46:47], v[28:29]
	v_mul_f64_e32 v[46:47], s[16:17], v[152:153]
	v_add_f64_e32 v[24:25], v[40:41], v[24:25]
	v_fma_f64 v[40:41], v[104:105], s[28:29], v[86:87]
	v_add_f64_e32 v[48:49], v[52:53], v[48:49]
	v_fma_f64 v[52:53], v[104:105], s[28:29], -v[86:87]
	v_add_f64_e32 v[28:29], v[44:45], v[28:29]
	v_mul_f64_e32 v[44:45], s[16:17], v[138:139]
	v_add_f64_e32 v[26:27], v[40:41], v[26:27]
	v_fma_f64 v[40:41], v[142:143], s[42:43], v[156:157]
	v_add_f64_e32 v[50:51], v[52:53], v[50:51]
	v_fma_f64 v[52:53], v[142:143], s[0:1], v[156:157]
	v_add_f64_e32 v[28:29], v[42:43], v[28:29]
	v_mul_f64_e32 v[42:43], s[6:7], v[164:165]
	v_add_f64_e32 v[24:25], v[40:41], v[24:25]
	v_fma_f64 v[40:41], v[116:117], s[6:7], v[162:163]
	v_add_f64_e32 v[48:49], v[52:53], v[48:49]
	v_fma_f64 v[52:53], v[116:117], s[6:7], -v[162:163]
	v_add_f64_e32 v[42:43], v[219:220], v[42:43]
	s_delay_alu instid0(VALU_DEP_4) | instskip(SKIP_1) | instid1(VALU_DEP_4)
	v_add_f64_e32 v[26:27], v[40:41], v[26:27]
	v_fma_f64 v[40:41], v[160:161], s[46:47], v[178:179]
	v_add_f64_e32 v[50:51], v[52:53], v[50:51]
	v_fma_f64 v[52:53], v[160:161], s[38:39], v[178:179]
	s_delay_alu instid0(VALU_DEP_3) | instskip(SKIP_1) | instid1(VALU_DEP_3)
	v_add_f64_e32 v[24:25], v[40:41], v[24:25]
	v_fma_f64 v[40:41], v[128:129], s[34:35], v[182:183]
	v_add_f64_e32 v[48:49], v[52:53], v[48:49]
	v_fma_f64 v[52:53], v[128:129], s[34:35], -v[182:183]
	s_delay_alu instid0(VALU_DEP_3) | instskip(SKIP_1) | instid1(VALU_DEP_3)
	v_add_f64_e32 v[26:27], v[40:41], v[26:27]
	v_fma_f64 v[40:41], v[170:171], s[14:15], v[194:195]
	v_add_f64_e32 v[50:51], v[52:53], v[50:51]
	v_fma_f64 v[52:53], v[170:171], s[48:49], v[194:195]
	s_delay_alu instid0(VALU_DEP_3) | instskip(SKIP_1) | instid1(VALU_DEP_3)
	v_add_f64_e32 v[24:25], v[40:41], v[24:25]
	v_fma_f64 v[40:41], v[138:139], s[10:11], v[196:197]
	v_add_f64_e32 v[48:49], v[52:53], v[48:49]
	v_fma_f64 v[52:53], v[138:139], s[10:11], -v[196:197]
	s_wait_loadcnt 0x0
	v_add_f64_e64 v[206:207], v[206:207], -v[0:1]
	scratch_load_b64 v[0:1], off, off offset:268 th:TH_LOAD_LU ; 8-byte Folded Reload
	v_add_f64_e32 v[40:41], v[40:41], v[26:27]
	v_fma_f64 v[26:27], v[174:175], s[50:51], v[198:199]
	v_add_f64_e32 v[52:53], v[52:53], v[50:51]
	v_fma_f64 v[50:51], v[174:175], s[26:27], v[198:199]
	s_delay_alu instid0(VALU_DEP_3) | instskip(SKIP_1) | instid1(VALU_DEP_3)
	v_add_f64_e32 v[26:27], v[26:27], v[24:25]
	v_fma_f64 v[24:25], v[148:149], s[24:25], v[200:201]
	v_add_f64_e32 v[50:51], v[50:51], v[48:49]
	v_add_f64_e32 v[48:49], v[56:57], v[52:53]
	s_delay_alu instid0(VALU_DEP_3) | instskip(SKIP_1) | instid1(VALU_DEP_1)
	v_add_f64_e32 v[24:25], v[24:25], v[40:41]
	v_mul_f64_e32 v[40:41], s[24:25], v[144:145]
	v_add_f64_e32 v[40:41], v[237:238], v[40:41]
	s_delay_alu instid0(VALU_DEP_1)
	v_add_f64_e32 v[28:29], v[40:41], v[28:29]
	v_mul_f64_e32 v[40:41], s[6:7], v[148:149]
	s_wait_loadcnt 0x0
	v_add_f64_e64 v[202:203], v[202:203], -v[0:1]
	scratch_load_b64 v[0:1], off, off offset:372 th:TH_LOAD_LU ; 8-byte Folded Reload
	v_add_f64_e32 v[30:31], v[202:203], v[30:31]
	v_mul_f64_e32 v[202:203], s[10:11], v[116:117]
	s_delay_alu instid0(VALU_DEP_2) | instskip(SKIP_1) | instid1(VALU_DEP_3)
	v_add_f64_e32 v[30:31], v[206:207], v[30:31]
	v_mul_f64_e32 v[206:207], s[34:35], v[92:93]
	v_add_f64_e64 v[202:203], v[202:203], -v[235:236]
	s_delay_alu instid0(VALU_DEP_3)
	v_add_f64_e32 v[30:31], v[204:205], v[30:31]
	v_mul_f64_e32 v[204:205], s[28:29], v[88:89]
	s_wait_loadcnt 0x0
	v_add_f64_e32 v[46:47], v[0:1], v[46:47]
	scratch_load_b64 v[0:1], off, off offset:316 th:TH_LOAD_LU ; 8-byte Folded Reload
	v_add_f64_e32 v[28:29], v[46:47], v[28:29]
	v_mul_f64_e32 v[46:47], s[34:35], v[108:109]
	s_delay_alu instid0(VALU_DEP_1)
	v_add_f64_e32 v[46:47], v[223:224], v[46:47]
	s_wait_loadcnt 0x0
	v_add_f64_e64 v[44:45], v[44:45], -v[0:1]
	scratch_load_b64 v[0:1], off, off offset:324 th:TH_LOAD_LU ; 8-byte Folded Reload
	v_add_f64_e32 v[44:45], v[44:45], v[30:31]
	v_add_f64_e32 v[30:31], v[42:43], v[28:29]
	v_mul_f64_e32 v[42:43], s[10:11], v[132:133]
	s_delay_alu instid0(VALU_DEP_1)
	v_add_f64_e32 v[42:43], v[106:107], v[42:43]
	v_mul_f64_e32 v[106:107], s[28:29], v[96:97]
	s_wait_loadcnt 0x0
	v_add_f64_e64 v[40:41], v[40:41], -v[0:1]
	scratch_load_b64 v[0:1], off, off offset:388 th:TH_LOAD_LU ; 8-byte Folded Reload
	v_add_f64_e32 v[28:29], v[40:41], v[44:45]
	v_mul_f64_e32 v[44:45], s[24:25], v[120:121]
	v_mul_f64_e32 v[40:41], s[6:7], v[144:145]
	s_delay_alu instid0(VALU_DEP_2) | instskip(NEXT) | instid1(VALU_DEP_2)
	v_add_f64_e32 v[44:45], v[239:240], v[44:45]
	v_add_f64_e32 v[40:41], v[154:155], v[40:41]
	v_mul_f64_e32 v[154:155], s[6:7], v[128:129]
	s_delay_alu instid0(VALU_DEP_1)
	v_add_f64_e64 v[154:155], v[154:155], -v[253:254]
	s_wait_loadcnt 0x0
	v_add_f64_e32 v[106:107], v[0:1], v[106:107]
	scratch_load_b64 v[0:1], off, off offset:292 th:TH_LOAD_LU ; 8-byte Folded Reload
	v_add_f64_e32 v[32:33], v[106:107], v[32:33]
	v_mul_f64_e32 v[106:107], s[24:25], v[104:105]
	s_delay_alu instid0(VALU_DEP_2) | instskip(SKIP_1) | instid1(VALU_DEP_2)
	v_add_f64_e32 v[32:33], v[46:47], v[32:33]
	v_mul_f64_e32 v[46:47], s[20:21], v[152:153]
	v_add_f64_e32 v[32:33], v[44:45], v[32:33]
	v_mul_f64_e32 v[44:45], s[20:21], v[138:139]
	s_delay_alu instid0(VALU_DEP_3) | instskip(NEXT) | instid1(VALU_DEP_3)
	v_add_f64_e32 v[46:47], v[241:242], v[46:47]
	v_add_f64_e32 v[32:33], v[42:43], v[32:33]
	s_delay_alu instid0(VALU_DEP_3) | instskip(SKIP_1) | instid1(VALU_DEP_3)
	v_add_f64_e64 v[44:45], v[44:45], -v[227:228]
	v_mul_f64_e32 v[42:43], s[30:31], v[164:165]
	v_add_f64_e32 v[32:33], v[40:41], v[32:33]
	v_mul_f64_e32 v[40:41], s[30:31], v[148:149]
	s_delay_alu instid0(VALU_DEP_3) | instskip(NEXT) | instid1(VALU_DEP_3)
	v_add_f64_e32 v[42:43], v[243:244], v[42:43]
	v_add_f64_e32 v[32:33], v[46:47], v[32:33]
	s_delay_alu instid0(VALU_DEP_3) | instskip(SKIP_1) | instid1(VALU_DEP_1)
	v_add_f64_e64 v[40:41], v[40:41], -v[221:222]
	v_mul_f64_e32 v[46:47], s[24:25], v[108:109]
	v_add_f64_e32 v[46:47], v[251:252], v[46:47]
	s_wait_loadcnt 0x0
	v_add_f64_e64 v[204:205], v[204:205], -v[0:1]
	scratch_load_b64 v[0:1], off, off offset:340 th:TH_LOAD_LU ; 8-byte Folded Reload
	v_add_f64_e32 v[34:35], v[204:205], v[34:35]
	s_wait_loadcnt 0x0
	v_add_f64_e64 v[206:207], v[206:207], -v[0:1]
	scratch_load_b64 v[0:1], off, off offset:356 th:TH_LOAD_LU ; 8-byte Folded Reload
	;; [unrolled: 4-line block ×3, first 2 shown]
	v_add_f64_e32 v[34:35], v[106:107], v[34:35]
	v_mul_f64_e32 v[106:107], s[34:35], v[96:97]
	s_delay_alu instid0(VALU_DEP_2) | instskip(NEXT) | instid1(VALU_DEP_2)
	v_add_f64_e32 v[34:35], v[202:203], v[34:35]
	v_add_f64_e32 v[106:107], v[233:234], v[106:107]
	s_delay_alu instid0(VALU_DEP_2) | instskip(SKIP_1) | instid1(VALU_DEP_3)
	v_add_f64_e32 v[34:35], v[154:155], v[34:35]
	v_mul_f64_e32 v[154:155], s[24:25], v[92:93]
	v_add_f64_e32 v[36:37], v[106:107], v[36:37]
	v_mul_f64_e32 v[106:107], s[6:7], v[104:105]
	s_delay_alu instid0(VALU_DEP_4)
	v_add_f64_e32 v[44:45], v[44:45], v[34:35]
	v_add_f64_e32 v[34:35], v[42:43], v[32:33]
	v_add_f64_e64 v[154:155], v[154:155], -v[225:226]
	v_mul_f64_e32 v[42:43], s[16:17], v[132:133]
	v_add_f64_e64 v[106:107], v[106:107], -v[231:232]
	v_add_f64_e32 v[36:37], v[46:47], v[36:37]
	v_mul_f64_e32 v[46:47], s[28:29], v[152:153]
	v_add_f64_e32 v[32:33], v[40:41], v[44:45]
	v_mul_f64_e32 v[44:45], s[6:7], v[120:121]
	v_mul_f64_e32 v[40:41], s[30:31], v[144:145]
	v_add_f64_e32 v[42:43], v[158:159], v[42:43]
	v_add_f64_e32 v[46:47], v[122:123], v[46:47]
	s_delay_alu instid0(VALU_DEP_4) | instskip(SKIP_2) | instid1(VALU_DEP_3)
	v_add_f64_e32 v[44:45], v[118:119], v[44:45]
	v_mul_f64_e32 v[118:119], s[30:31], v[128:129]
	v_add_f64_e32 v[40:41], v[188:189], v[40:41]
	v_add_f64_e32 v[36:37], v[44:45], v[36:37]
	s_delay_alu instid0(VALU_DEP_3) | instskip(SKIP_2) | instid1(VALU_DEP_4)
	v_add_f64_e64 v[118:119], v[118:119], -v[146:147]
	v_mul_f64_e32 v[146:147], s[16:17], v[116:117]
	v_mul_f64_e32 v[44:45], s[28:29], v[138:139]
	v_add_f64_e32 v[36:37], v[42:43], v[36:37]
	v_mul_f64_e32 v[42:43], s[10:11], v[164:165]
	s_delay_alu instid0(VALU_DEP_4)
	v_add_f64_e64 v[98:99], v[146:147], -v[98:99]
	v_mul_f64_e32 v[146:147], s[34:35], v[88:89]
	v_add_f64_e64 v[44:45], v[44:45], -v[94:95]
	v_mul_f64_e32 v[94:95], s[30:31], v[96:97]
	v_add_f64_e32 v[36:37], v[40:41], v[36:37]
	v_mul_f64_e32 v[40:41], s[10:11], v[148:149]
	v_add_f64_e32 v[42:43], v[110:111], v[42:43]
	v_add_f64_e64 v[146:147], v[146:147], -v[213:214]
	v_mul_f64_e32 v[110:111], s[10:11], v[92:93]
	v_add_f64_e32 v[90:91], v[90:91], v[94:95]
	v_mul_f64_e32 v[94:95], s[20:21], v[128:129]
	v_add_f64_e32 v[36:37], v[46:47], v[36:37]
	v_add_f64_e64 v[40:41], v[40:41], -v[249:250]
	v_mul_f64_e32 v[46:47], s[10:11], v[108:109]
	v_add_f64_e32 v[38:39], v[146:147], v[38:39]
	v_add_f64_e64 v[110:111], v[110:111], -v[245:246]
	v_add_f64_e32 v[78:79], v[90:91], v[78:79]
	v_mul_f64_e32 v[90:91], s[16:17], v[104:105]
	v_add_f64_e64 v[94:95], v[94:95], -v[186:187]
	v_add_f64_e32 v[46:47], v[134:135], v[46:47]
	v_add_f64_e32 v[38:39], v[154:155], v[38:39]
	s_delay_alu instid0(VALU_DEP_4) | instskip(NEXT) | instid1(VALU_DEP_3)
	v_add_f64_e64 v[90:91], v[90:91], -v[247:248]
	v_add_f64_e32 v[46:47], v[46:47], v[78:79]
	s_delay_alu instid0(VALU_DEP_3) | instskip(SKIP_1) | instid1(VALU_DEP_2)
	v_add_f64_e32 v[38:39], v[106:107], v[38:39]
	v_mul_f64_e32 v[106:107], s[30:31], v[88:89]
	v_add_f64_e32 v[38:39], v[98:99], v[38:39]
	s_delay_alu instid0(VALU_DEP_2) | instskip(SKIP_1) | instid1(VALU_DEP_3)
	v_add_f64_e64 v[106:107], v[106:107], -v[229:230]
	v_mul_f64_e32 v[98:99], s[34:35], v[116:117]
	v_add_f64_e32 v[38:39], v[118:119], v[38:39]
	s_delay_alu instid0(VALU_DEP_3) | instskip(NEXT) | instid1(VALU_DEP_3)
	v_add_f64_e32 v[80:81], v[106:107], v[80:81]
	v_add_f64_e64 v[98:99], v[98:99], -v[150:151]
	s_delay_alu instid0(VALU_DEP_3)
	v_add_f64_e32 v[44:45], v[44:45], v[38:39]
	v_add_f64_e32 v[38:39], v[42:43], v[36:37]
	v_mul_f64_e32 v[42:43], s[34:35], v[132:133]
	v_add_f64_e32 v[78:79], v[110:111], v[80:81]
	v_mul_f64_e32 v[80:81], s[6:7], v[152:153]
	;; [unrolled: 2-line block ×3, first 2 shown]
	v_mul_f64_e32 v[40:41], s[20:21], v[144:145]
	v_add_f64_e32 v[42:43], v[190:191], v[42:43]
	v_add_f64_e32 v[80:81], v[184:185], v[80:81]
	s_delay_alu instid0(VALU_DEP_4) | instskip(NEXT) | instid1(VALU_DEP_4)
	v_add_f64_e32 v[44:45], v[180:181], v[44:45]
	v_add_f64_e32 v[40:41], v[192:193], v[40:41]
	s_delay_alu instid0(VALU_DEP_2) | instskip(SKIP_2) | instid1(VALU_DEP_3)
	v_add_f64_e32 v[44:45], v[44:45], v[46:47]
	v_add_f64_e32 v[46:47], v[90:91], v[78:79]
	v_mul_f64_e32 v[78:79], s[6:7], v[138:139]
	v_add_f64_e32 v[42:43], v[42:43], v[44:45]
	s_delay_alu instid0(VALU_DEP_3) | instskip(NEXT) | instid1(VALU_DEP_3)
	v_add_f64_e32 v[44:45], v[98:99], v[46:47]
	v_add_f64_e64 v[78:79], v[78:79], -v[140:141]
	v_mul_f64_e32 v[46:47], s[28:29], v[164:165]
	s_delay_alu instid0(VALU_DEP_4) | instskip(NEXT) | instid1(VALU_DEP_4)
	v_add_f64_e32 v[40:41], v[40:41], v[42:43]
	v_add_f64_e32 v[42:43], v[94:95], v[44:45]
	v_mul_f64_e32 v[44:45], s[28:29], v[148:149]
	s_delay_alu instid0(VALU_DEP_4) | instskip(NEXT) | instid1(VALU_DEP_4)
	v_add_f64_e32 v[46:47], v[166:167], v[46:47]
	v_add_f64_e32 v[40:41], v[80:81], v[40:41]
	s_delay_alu instid0(VALU_DEP_4) | instskip(NEXT) | instid1(VALU_DEP_4)
	v_add_f64_e32 v[78:79], v[78:79], v[42:43]
	v_add_f64_e64 v[44:45], v[44:45], -v[130:131]
	v_mul_f64_e32 v[130:131], s[16:17], v[164:165]
	s_delay_alu instid0(VALU_DEP_4) | instskip(NEXT) | instid1(VALU_DEP_3)
	v_add_f64_e32 v[42:43], v[46:47], v[40:41]
	v_add_f64_e32 v[40:41], v[44:45], v[78:79]
	v_mul_f64_e32 v[78:79], s[24:25], v[96:97]
	s_delay_alu instid0(VALU_DEP_4) | instskip(NEXT) | instid1(VALU_DEP_2)
	v_fma_f64 v[84:85], v[174:175], s[18:19], v[130:131]
	v_fma_f64 v[44:45], v[100:101], s[50:51], v[78:79]
	;; [unrolled: 1-line block ×3, first 2 shown]
	s_delay_alu instid0(VALU_DEP_2) | instskip(SKIP_1) | instid1(VALU_DEP_3)
	v_add_f64_e32 v[44:45], v[44:45], v[76:77]
	v_mul_f64_e32 v[76:77], s[50:51], v[102:103]
	v_add_f64_e32 v[52:53], v[52:53], v[70:71]
	s_delay_alu instid0(VALU_DEP_2) | instskip(SKIP_2) | instid1(VALU_DEP_3)
	v_fma_f64 v[46:47], v[88:89], s[24:25], -v[76:77]
	v_fma_f64 v[70:71], v[88:89], s[24:25], v[76:77]
	v_mul_f64_e32 v[76:77], s[28:29], v[128:129]
	v_add_f64_e32 v[46:47], v[46:47], v[54:55]
	v_mul_f64_e32 v[54:55], s[6:7], v[108:109]
	s_delay_alu instid0(VALU_DEP_4) | instskip(SKIP_1) | instid1(VALU_DEP_3)
	v_add_f64_e32 v[64:65], v[70:71], v[64:65]
	v_mul_f64_e32 v[70:71], s[10:11], v[96:97]
	v_fma_f64 v[80:81], v[112:113], s[0:1], v[54:55]
	v_fma_f64 v[54:55], v[112:113], s[42:43], v[54:55]
	s_delay_alu instid0(VALU_DEP_2) | instskip(SKIP_1) | instid1(VALU_DEP_3)
	v_add_f64_e32 v[44:45], v[80:81], v[44:45]
	v_mul_f64_e32 v[80:81], s[0:1], v[114:115]
	v_add_f64_e32 v[52:53], v[54:55], v[52:53]
	s_delay_alu instid0(VALU_DEP_2) | instskip(SKIP_2) | instid1(VALU_DEP_3)
	v_fma_f64 v[90:91], v[92:93], s[6:7], -v[80:81]
	v_fma_f64 v[54:55], v[92:93], s[6:7], v[80:81]
	v_mul_f64_e32 v[80:81], s[10:11], v[88:89]
	v_add_f64_e32 v[46:47], v[90:91], v[46:47]
	v_mul_f64_e32 v[90:91], s[30:31], v[120:121]
	s_delay_alu instid0(VALU_DEP_4) | instskip(NEXT) | instid1(VALU_DEP_2)
	v_add_f64_e32 v[54:55], v[54:55], v[64:65]
	v_fma_f64 v[94:95], v[126:127], s[40:41], v[90:91]
	v_fma_f64 v[78:79], v[126:127], s[36:37], v[90:91]
	s_delay_alu instid0(VALU_DEP_2) | instskip(SKIP_1) | instid1(VALU_DEP_3)
	v_add_f64_e32 v[44:45], v[94:95], v[44:45]
	v_mul_f64_e32 v[94:95], s[40:41], v[124:125]
	v_add_f64_e32 v[52:53], v[78:79], v[52:53]
	v_mul_f64_e32 v[124:125], s[44:45], v[176:177]
	v_mul_f64_e32 v[78:79], s[24:25], v[116:117]
	s_delay_alu instid0(VALU_DEP_4) | instskip(SKIP_1) | instid1(VALU_DEP_2)
	v_fma_f64 v[98:99], v[104:105], s[30:31], -v[94:95]
	v_fma_f64 v[64:65], v[104:105], s[30:31], v[94:95]
	v_add_f64_e32 v[46:47], v[98:99], v[46:47]
	v_mul_f64_e32 v[98:99], s[20:21], v[132:133]
	s_delay_alu instid0(VALU_DEP_3) | instskip(NEXT) | instid1(VALU_DEP_2)
	v_add_f64_e32 v[54:55], v[64:65], v[54:55]
	v_fma_f64 v[102:103], v[142:143], s[56:57], v[98:99]
	v_fma_f64 v[68:69], v[142:143], s[22:23], v[98:99]
	s_delay_alu instid0(VALU_DEP_2) | instskip(SKIP_1) | instid1(VALU_DEP_3)
	v_add_f64_e32 v[44:45], v[102:103], v[44:45]
	v_mul_f64_e32 v[102:103], s[56:57], v[136:137]
	v_add_f64_e32 v[52:53], v[68:69], v[52:53]
	v_mul_f64_e32 v[68:69], s[16:17], v[108:109]
	s_delay_alu instid0(VALU_DEP_3) | instskip(SKIP_1) | instid1(VALU_DEP_2)
	v_fma_f64 v[106:107], v[116:117], s[20:21], -v[102:103]
	v_fma_f64 v[64:65], v[116:117], s[20:21], v[102:103]
	v_add_f64_e32 v[46:47], v[106:107], v[46:47]
	v_mul_f64_e32 v[106:107], s[10:11], v[144:145]
	s_delay_alu instid0(VALU_DEP_3) | instskip(SKIP_1) | instid1(VALU_DEP_3)
	v_add_f64_e32 v[54:55], v[64:65], v[54:55]
	v_mul_f64_e32 v[64:65], s[20:21], v[120:121]
	v_fma_f64 v[110:111], v[160:161], s[14:15], v[106:107]
	v_fma_f64 v[58:59], v[160:161], s[48:49], v[106:107]
	s_delay_alu instid0(VALU_DEP_2) | instskip(SKIP_1) | instid1(VALU_DEP_3)
	v_add_f64_e32 v[44:45], v[110:111], v[44:45]
	v_mul_f64_e32 v[110:111], s[14:15], v[168:169]
	v_add_f64_e32 v[52:53], v[58:59], v[52:53]
	s_delay_alu instid0(VALU_DEP_2) | instskip(SKIP_1) | instid1(VALU_DEP_2)
	v_fma_f64 v[114:115], v[128:129], s[10:11], -v[110:111]
	v_fma_f64 v[58:59], v[128:129], s[10:11], v[110:111]
	v_add_f64_e32 v[46:47], v[114:115], v[46:47]
	v_mul_f64_e32 v[114:115], s[34:35], v[152:153]
	s_delay_alu instid0(VALU_DEP_3) | instskip(SKIP_1) | instid1(VALU_DEP_3)
	v_add_f64_e32 v[54:55], v[58:59], v[54:55]
	v_fma_f64 v[58:59], v[148:149], s[16:17], v[124:125]
	v_fma_f64 v[118:119], v[170:171], s[38:39], v[114:115]
	;; [unrolled: 1-line block ×3, first 2 shown]
	s_delay_alu instid0(VALU_DEP_2) | instskip(SKIP_1) | instid1(VALU_DEP_3)
	v_add_f64_e32 v[44:45], v[118:119], v[44:45]
	v_mul_f64_e32 v[118:119], s[38:39], v[172:173]
	v_add_f64_e32 v[52:53], v[56:57], v[52:53]
	s_delay_alu instid0(VALU_DEP_2) | instskip(SKIP_1) | instid1(VALU_DEP_2)
	v_fma_f64 v[56:57], v[138:139], s[34:35], v[118:119]
	v_fma_f64 v[122:123], v[138:139], s[34:35], -v[118:119]
	v_add_f64_e32 v[56:57], v[56:57], v[54:55]
	s_delay_alu instid0(VALU_DEP_4) | instskip(SKIP_1) | instid1(VALU_DEP_4)
	v_add_f64_e32 v[54:55], v[84:85], v[52:53]
	v_mul_f64_e32 v[84:85], s[16:17], v[92:93]
	v_add_f64_e32 v[122:123], v[122:123], v[46:47]
	v_fma_f64 v[46:47], v[174:175], s[44:45], v[130:131]
	v_add_f64_e32 v[52:53], v[58:59], v[56:57]
	v_mul_f64_e32 v[56:57], s[28:29], v[144:145]
	v_mul_f64_e32 v[58:59], s[24:25], v[132:133]
	s_delay_alu instid0(VALU_DEP_4) | instskip(SKIP_2) | instid1(VALU_DEP_4)
	v_add_f64_e32 v[46:47], v[46:47], v[44:45]
	v_fma_f64 v[44:45], v[148:149], s[16:17], -v[124:125]
	s_wait_loadcnt 0x0
	v_add_f64_e32 v[56:57], v[0:1], v[56:57]
	scratch_load_b64 v[0:1], off, off offset:156 th:TH_LOAD_LU ; 8-byte Folded Reload
	v_add_f64_e32 v[44:45], v[44:45], v[122:123]
	s_wait_loadcnt 0x0
	v_add_f64_e32 v[58:59], v[0:1], v[58:59]
	scratch_load_b64 v[0:1], off, off offset:124 th:TH_LOAD_LU ; 8-byte Folded Reload
	s_wait_loadcnt 0x0
	v_add_f64_e32 v[64:65], v[0:1], v[64:65]
	scratch_load_b64 v[0:1], off, off offset:92 th:TH_LOAD_LU ; 8-byte Folded Reload
	;; [unrolled: 3-line block ×4, first 2 shown]
	v_add_f64_e32 v[70:71], v[70:71], v[82:83]
	s_delay_alu instid0(VALU_DEP_1) | instskip(SKIP_1) | instid1(VALU_DEP_2)
	v_add_f64_e32 v[68:69], v[68:69], v[70:71]
	v_mul_f64_e32 v[70:71], s[30:31], v[152:153]
	v_add_f64_e32 v[64:65], v[64:65], v[68:69]
	v_mul_f64_e32 v[68:69], s[30:31], v[138:139]
	s_delay_alu instid0(VALU_DEP_2) | instskip(NEXT) | instid1(VALU_DEP_1)
	v_add_f64_e32 v[58:59], v[58:59], v[64:65]
	v_add_f64_e32 v[56:57], v[56:57], v[58:59]
	s_wait_loadcnt 0x0
	v_add_f64_e64 v[76:77], v[76:77], -v[0:1]
	scratch_load_b64 v[0:1], off, off offset:108 th:TH_LOAD_LU ; 8-byte Folded Reload
	s_wait_loadcnt 0x0
	v_add_f64_e64 v[78:79], v[78:79], -v[0:1]
	scratch_load_b64 v[0:1], off, off offset:28 th:TH_LOAD_LU ; 8-byte Folded Reload
	;; [unrolled: 3-line block ×3, first 2 shown]
	v_add_f64_e32 v[66:67], v[80:81], v[66:67]
	v_mul_f64_e32 v[80:81], s[20:21], v[104:105]
	s_wait_loadcnt 0x0
	v_add_f64_e64 v[84:85], v[84:85], -v[0:1]
	scratch_load_b64 v[0:1], off, off offset:76 th:TH_LOAD_LU ; 8-byte Folded Reload
	v_add_f64_e32 v[66:67], v[84:85], v[66:67]
	s_wait_loadcnt 0x0
	v_add_f64_e64 v[80:81], v[80:81], -v[0:1]
	scratch_load_b64 v[0:1], off, off offset:204 th:TH_LOAD_LU ; 8-byte Folded Reload
	v_add_f64_e32 v[66:67], v[80:81], v[66:67]
	s_delay_alu instid0(VALU_DEP_1) | instskip(SKIP_1) | instid1(VALU_DEP_2)
	v_add_f64_e32 v[64:65], v[78:79], v[66:67]
	v_mul_f64_e32 v[66:67], s[34:35], v[164:165]
	v_add_f64_e32 v[58:59], v[76:77], v[64:65]
	v_mul_f64_e32 v[64:65], s[34:35], v[148:149]
	s_wait_loadcnt 0x0
	v_add_f64_e32 v[70:71], v[0:1], v[70:71]
	scratch_load_b64 v[0:1], off, off offset:172 th:TH_LOAD_LU ; 8-byte Folded Reload
	v_add_f64_e32 v[56:57], v[70:71], v[56:57]
	s_wait_loadcnt 0x0
	v_add_f64_e64 v[68:69], v[68:69], -v[0:1]
	scratch_load_b64 v[0:1], off, off offset:236 th:TH_LOAD_LU ; 8-byte Folded Reload
	v_add_f64_e32 v[68:69], v[68:69], v[58:59]
	s_wait_loadcnt 0x0
	v_add_f64_e32 v[66:67], v[0:1], v[66:67]
	scratch_load_b64 v[0:1], off, off offset:188 th:TH_LOAD_LU ; 8-byte Folded Reload
	v_add_f64_e32 v[58:59], v[66:67], v[56:57]
	s_wait_loadcnt 0x0
	v_add_f64_e64 v[64:65], v[64:65], -v[0:1]
	scratch_load_b32 v0, off, off           ; 4-byte Folded Reload
	v_add_f64_e32 v[56:57], v[64:65], v[68:69]
	s_wait_loadcnt 0x0
	v_mul_lo_u16 v0, v0, 17
	s_delay_alu instid0(VALU_DEP_1) | instskip(NEXT) | instid1(VALU_DEP_1)
	v_and_b32_e32 v0, 0xffff, v0
	v_lshlrev_b32_e32 v0, 4, v0
	ds_store_b128 v0, v[28:31] offset:32
	ds_store_b128 v0, v[32:35] offset:48
	;; [unrolled: 1-line block ×15, first 2 shown]
	ds_store_b128 v0, v[16:19]
	scratch_load_b128 v[12:15], off, off offset:12 ; 16-byte Folded Reload
	s_wait_loadcnt 0x0
	ds_store_b128 v0, v[12:15] offset:256
.LBB0_7:
	s_or_b32 exec_lo, exec_lo, s33
	scratch_load_b32 v44, off, off          ; 4-byte Folded Reload
	s_load_b128 s[4:7], s[4:5], 0x0
	global_wb scope:SCOPE_SE
	s_wait_loadcnt_dscnt 0x0
	s_wait_kmcnt 0x0
	s_barrier_signal -1
	s_barrier_wait -1
	global_inv scope:SCOPE_SE
	v_and_b32_e32 v0, 0xff, v44
	v_add_nc_u16 v12, v44, 0x77
	v_add_co_u32 v1, null, 0xee, v44
	v_add_co_u32 v2, null, 0x165, v44
	s_delay_alu instid0(VALU_DEP_4) | instskip(NEXT) | instid1(VALU_DEP_4)
	v_mul_lo_u16 v0, 0xf1, v0
	v_and_b32_e32 v15, 0xff, v12
	v_add_co_u32 v3, null, 0x1dc, v44
	v_and_b32_e32 v16, 0xffff, v1
	s_delay_alu instid0(VALU_DEP_4) | instskip(SKIP_3) | instid1(VALU_DEP_4)
	v_lshrrev_b16 v0, 12, v0
	v_add_co_u32 v14, null, 0x253, v44
	v_and_b32_e32 v18, 0xffff, v2
	v_and_b32_e32 v19, 0xffff, v3
	v_mul_lo_u16 v13, v0, 17
	v_mul_lo_u16 v0, v0, 34
	v_cmp_gt_u16_e64 s0, 0x55, v44
	s_delay_alu instid0(VALU_DEP_3)
	v_sub_nc_u16 v17, v44, v13
	v_mul_lo_u16 v13, 0xf1, v15
	v_mul_u32_u24_e32 v15, 0xf0f1, v16
	v_and_b32_e32 v16, 0xffff, v14
	v_and_b32_e32 v0, 0xfe, v0
	;; [unrolled: 1-line block ×3, first 2 shown]
	v_lshrrev_b16 v37, 12, v13
	v_mul_u32_u24_e32 v17, 0xf0f1, v18
	v_lshrrev_b32_e32 v38, 20, v15
	v_mul_u32_u24_e32 v18, 0xf0f1, v19
	v_mul_u32_u24_e32 v16, 0xf0f1, v16
	v_mul_lo_u16 v19, v37, 17
	v_lshrrev_b32_e32 v39, 20, v17
	v_mul_lo_u16 v17, v38, 17
	v_lshrrev_b32_e32 v40, 20, v18
	v_lshrrev_b32_e32 v41, 20, v16
	v_sub_nc_u16 v16, v12, v19
	v_mul_lo_u16 v18, v39, 17
	v_sub_nc_u16 v1, v1, v17
	v_mul_lo_u16 v17, v40, 17
	v_mul_lo_u16 v19, v41, 17
	v_and_b32_e32 v42, 0xff, v16
	v_sub_nc_u16 v2, v2, v18
	v_and_b32_e32 v16, 0xffff, v1
	v_sub_nc_u16 v3, v3, v17
	v_lshlrev_b32_e32 v15, 4, v36
	v_sub_nc_u16 v43, v14, v19
	v_lshlrev_b32_e32 v14, 4, v42
	v_and_b32_e32 v17, 0xffff, v2
	v_lshlrev_b32_e32 v16, 4, v16
	v_and_b32_e32 v18, 0xffff, v3
	v_and_b32_e32 v19, 0xffff, v43
	s_clause 0x1
	global_load_b128 v[53:56], v15, s[2:3]
	global_load_b128 v[98:101], v14, s[2:3]
	v_lshlrev_b32_e32 v15, 4, v17
	v_lshlrev_b32_e32 v14, 4, v18
	global_load_b128 v[102:105], v16, s[2:3]
	v_lshlrev_b32_e32 v16, 4, v19
	s_clause 0x2
	global_load_b128 v[106:109], v15, s[2:3]
	global_load_b128 v[49:52], v14, s[2:3]
	;; [unrolled: 1-line block ×3, first 2 shown]
	v_and_b32_e32 v14, 0xffff, v44
	s_delay_alu instid0(VALU_DEP_1)
	v_lshlrev_b32_e32 v196, 4, v14
	ds_load_b128 v[14:17], v196 offset:11424
	ds_load_b128 v[18:21], v196 offset:13328
	ds_load_b128 v[22:25], v196 offset:15232
	ds_load_b128 v[26:29], v196 offset:17136
	ds_load_b128 v[30:33], v196 offset:19040
	ds_load_b128 v[64:67], v196 offset:20944
	s_wait_loadcnt_dscnt 0x505
	v_mul_f64_e32 v[34:35], v[16:17], v[55:56]
	v_mul_f64_e32 v[68:69], v[14:15], v[55:56]
	s_wait_loadcnt_dscnt 0x404
	v_mul_f64_e32 v[70:71], v[20:21], v[100:101]
	v_mul_f64_e32 v[76:77], v[18:19], v[100:101]
	s_wait_loadcnt_dscnt 0x303
	v_mul_f64_e32 v[78:79], v[24:25], v[104:105]
	v_mul_f64_e32 v[80:81], v[22:23], v[104:105]
	s_wait_loadcnt_dscnt 0x202
	v_mul_f64_e32 v[82:83], v[28:29], v[108:109]
	v_mul_f64_e32 v[84:85], v[26:27], v[108:109]
	s_wait_loadcnt_dscnt 0x101
	v_mul_f64_e32 v[86:87], v[32:33], v[51:52]
	v_mul_f64_e32 v[88:89], v[30:31], v[51:52]
	s_wait_loadcnt_dscnt 0x0
	v_mul_f64_e32 v[90:91], v[66:67], v[47:48]
	v_mul_f64_e32 v[92:93], v[64:65], v[47:48]
	s_clause 0x2
	scratch_store_b128 off, v[98:101], off offset:28
	scratch_store_b128 off, v[102:105], off offset:44
	;; [unrolled: 1-line block ×3, first 2 shown]
	v_fma_f64 v[34:35], v[14:15], v[53:54], -v[34:35]
	v_fma_f64 v[94:95], v[16:17], v[53:54], v[68:69]
	v_fma_f64 v[96:97], v[18:19], v[98:99], -v[70:71]
	v_fma_f64 v[98:99], v[20:21], v[98:99], v[76:77]
	;; [unrolled: 2-line block ×6, first 2 shown]
	ds_load_b128 v[14:17], v196
	ds_load_b128 v[18:21], v196 offset:1904
	ds_load_b128 v[22:25], v196 offset:3808
	;; [unrolled: 1-line block ×5, first 2 shown]
	global_wb scope:SCOPE_SE
	s_wait_storecnt_dscnt 0x0
	s_barrier_signal -1
	s_barrier_wait -1
	global_inv scope:SCOPE_SE
	v_add_f64_e64 v[68:69], v[14:15], -v[34:35]
	v_add_f64_e64 v[70:71], v[16:17], -v[94:95]
	;; [unrolled: 1-line block ×12, first 2 shown]
	v_fma_f64 v[14:15], v[14:15], 2.0, -v[68:69]
	v_fma_f64 v[16:17], v[16:17], 2.0, -v[70:71]
	;; [unrolled: 1-line block ×12, first 2 shown]
	v_and_b32_e32 v30, 0xffff, v37
	v_add_lshl_u32 v64, v0, v36, 4
	v_mad_u16 v0, v38, 34, v1
	v_mad_u16 v1, v39, 34, v2
	;; [unrolled: 1-line block ×4, first 2 shown]
	v_mul_u32_u24_e32 v30, 34, v30
	v_and_b32_e32 v0, 0xffff, v0
	v_and_b32_e32 v1, 0xffff, v1
	;; [unrolled: 1-line block ×4, first 2 shown]
	v_add_lshl_u32 v89, v30, v42, 4
	v_lshlrev_b32_e32 v88, 4, v0
	v_lshlrev_b32_e32 v67, 4, v1
	;; [unrolled: 1-line block ×4, first 2 shown]
	ds_store_b128 v64, v[14:17]
	ds_store_b128 v64, v[68:71] offset:272
	ds_store_b128 v89, v[18:21]
	ds_store_b128 v89, v[76:79] offset:272
	ds_store_b128 v88, v[22:25]
	ds_store_b128 v88, v[80:83] offset:272
	ds_store_b128 v67, v[26:29]
	ds_store_b128 v67, v[84:87] offset:272
	ds_store_b128 v66, v[108:111]
	ds_store_b128 v66, v[100:103] offset:272
	ds_store_b128 v65, v[112:115]
	ds_store_b128 v65, v[104:107] offset:272
	global_wb scope:SCOPE_SE
	s_wait_dscnt 0x0
	s_barrier_signal -1
	s_barrier_wait -1
	global_inv scope:SCOPE_SE
	ds_load_b128 v[92:95], v196
	ds_load_b128 v[132:135], v196 offset:3264
	ds_load_b128 v[128:131], v196 offset:6528
	;; [unrolled: 1-line block ×6, first 2 shown]
	s_and_saveexec_b32 s1, s0
	s_cbranch_execz .LBB0_9
; %bb.8:
	ds_load_b128 v[84:87], v196 offset:1904
	ds_load_b128 v[108:111], v196 offset:5168
	;; [unrolled: 1-line block ×7, first 2 shown]
.LBB0_9:
	s_wait_alu 0xfffe
	s_or_b32 exec_lo, exec_lo, s1
	scratch_load_b32 v3, off, off           ; 4-byte Folded Reload
	v_lshrrev_b16 v1, 13, v13
	s_mov_b32 s14, 0x37e14327
	s_mov_b32 s16, 0xe976ee23
	s_mov_b32 s18, 0x429ad128
	s_mov_b32 s10, 0x36b3c0b5
	scratch_store_b32 off, v1, off offset:172 ; 4-byte Folded Spill
	v_mul_lo_u16 v1, v1, 34
	s_mov_b32 s15, 0x3fe948f6
	s_mov_b32 s17, 0xbfe11646
	s_mov_b32 s19, 0x3febfeb5
	s_mov_b32 s11, 0x3fac98ee
	v_sub_nc_u16 v1, v12, v1
	s_mov_b32 s20, 0xaaaaaaaa
	s_mov_b32 s21, 0xbff2aaaa
	;; [unrolled: 1-line block ×4, first 2 shown]
	v_and_b32_e32 v12, 0xff, v1
	scratch_store_b32 off, v12, off offset:180 ; 4-byte Folded Spill
	v_mad_co_u64_u32 v[12:13], null, 0x60, v12, s[2:3]
	global_load_b128 v[16:19], v[12:13], off offset:272
	s_wait_loadcnt 0x1
	v_and_b32_e32 v0, 0xff, v3
	s_delay_alu instid0(VALU_DEP_1) | instskip(NEXT) | instid1(VALU_DEP_1)
	v_mul_lo_u16 v0, 0xf1, v0
	v_lshrrev_b16 v0, 13, v0
	s_delay_alu instid0(VALU_DEP_1) | instskip(SKIP_1) | instid1(VALU_DEP_2)
	v_mul_lo_u16 v2, v0, 34
	v_and_b32_e32 v0, 0xffff, v0
	v_sub_nc_u16 v1, v3, v2
	s_delay_alu instid0(VALU_DEP_2) | instskip(NEXT) | instid1(VALU_DEP_2)
	v_mul_u32_u24_e32 v0, 0xee, v0
	v_and_b32_e32 v1, 0xff, v1
	s_delay_alu instid0(VALU_DEP_1) | instskip(NEXT) | instid1(VALU_DEP_3)
	v_mad_co_u64_u32 v[14:15], null, 0x60, v1, s[2:3]
	v_add_lshl_u32 v249, v0, v1, 4
	s_clause 0xa
	global_load_b128 v[76:79], v[12:13], off offset:288
	global_load_b128 v[20:23], v[12:13], off offset:336
	;; [unrolled: 1-line block ×11, first 2 shown]
	s_wait_loadcnt_dscnt 0xb05
	v_mul_f64_e32 v[12:13], v[110:111], v[18:19]
	v_mul_f64_e32 v[14:15], v[108:109], v[18:19]
	scratch_store_b128 off, v[16:19], off offset:188 ; 16-byte Folded Spill
	v_fma_f64 v[12:13], v[108:109], v[16:17], -v[12:13]
	v_fma_f64 v[14:15], v[110:111], v[16:17], v[14:15]
	s_wait_loadcnt_dscnt 0xa04
	v_mul_f64_e32 v[140:141], v[102:103], v[78:79]
	s_wait_loadcnt 0x9
	scratch_store_b128 off, v[20:23], off offset:204 ; 16-byte Folded Spill
	v_mul_f64_e32 v[142:143], v[100:101], v[78:79]
	s_wait_dscnt 0x1
	v_mul_f64_e32 v[144:145], v[74:75], v[22:23]
	v_mul_f64_e32 v[146:147], v[72:73], v[22:23]
	s_wait_loadcnt_dscnt 0x800
	v_mul_f64_e32 v[148:149], v[62:63], v[34:35]
	v_mul_f64_e32 v[150:151], v[60:61], v[34:35]
	s_wait_loadcnt 0x7
	v_mul_f64_e32 v[152:153], v[134:135], v[190:191]
	v_mul_f64_e32 v[154:155], v[132:133], v[190:191]
	s_wait_loadcnt 0x6
	;; [unrolled: 3-line block ×8, first 2 shown]
	v_mul_f64_e32 v[180:181], v[122:123], v[70:71]
	v_mul_f64_e32 v[182:183], v[120:121], v[70:71]
	s_clause 0x7
	scratch_store_b128 off, v[76:79], off offset:268
	scratch_store_b128 off, v[32:35], off offset:252
	;; [unrolled: 1-line block ×8, first 2 shown]
	global_wb scope:SCOPE_SE
	s_wait_storecnt 0x0
	s_barrier_signal -1
	s_barrier_wait -1
	global_inv scope:SCOPE_SE
	v_fma_f64 v[100:101], v[100:101], v[76:77], -v[140:141]
	v_fma_f64 v[102:103], v[102:103], v[76:77], v[142:143]
	v_fma_f64 v[72:73], v[72:73], v[20:21], -v[144:145]
	v_fma_f64 v[74:75], v[74:75], v[20:21], v[146:147]
	;; [unrolled: 2-line block ×11, first 2 shown]
	v_add_f64_e32 v[140:141], v[100:101], v[72:73]
	v_add_f64_e32 v[142:143], v[102:103], v[74:75]
	;; [unrolled: 1-line block ×4, first 2 shown]
	v_add_f64_e64 v[12:13], v[12:13], -v[60:61]
	v_add_f64_e64 v[14:15], v[14:15], -v[62:63]
	;; [unrolled: 1-line block ×4, first 2 shown]
	v_add_f64_e32 v[144:145], v[108:109], v[132:133]
	v_add_f64_e32 v[146:147], v[110:111], v[134:135]
	;; [unrolled: 1-line block ×4, first 2 shown]
	v_add_f64_e64 v[108:109], v[108:109], -v[132:133]
	v_add_f64_e64 v[110:111], v[110:111], -v[134:135]
	v_add_f64_e32 v[62:63], v[112:113], v[104:105]
	v_add_f64_e32 v[152:153], v[114:115], v[106:107]
	v_add_f64_e64 v[106:107], v[106:107], -v[114:115]
	v_add_f64_e64 v[114:115], v[128:129], -v[124:125]
	;; [unrolled: 1-line block ×3, first 2 shown]
	v_add_f64_e32 v[72:73], v[116:117], v[120:121]
	v_add_f64_e64 v[116:117], v[120:121], -v[116:117]
	v_add_f64_e64 v[120:121], v[122:123], -v[118:119]
	v_add_f64_e32 v[118:119], v[118:119], v[122:123]
	v_add_f64_e64 v[104:105], v[104:105], -v[112:113]
	v_add_f64_e32 v[74:75], v[140:141], v[136:137]
	v_add_f64_e32 v[100:101], v[142:143], v[138:139]
	v_add_f64_e64 v[132:133], v[60:61], -v[12:13]
	v_add_f64_e64 v[134:135], v[102:103], -v[14:15]
	v_add_f64_e32 v[122:123], v[148:149], v[144:145]
	v_add_f64_e32 v[126:127], v[150:151], v[146:147]
	v_add_f64_e64 v[112:113], v[136:137], -v[62:63]
	v_add_f64_e64 v[128:129], v[138:139], -v[152:153]
	;; [unrolled: 1-line block ×11, first 2 shown]
	v_add_f64_e32 v[174:175], v[106:107], v[102:103]
	v_add_f64_e64 v[176:177], v[12:13], -v[104:105]
	v_add_f64_e64 v[178:179], v[14:15], -v[106:107]
	v_add_f64_e32 v[114:115], v[116:117], v[114:115]
	v_add_f64_e32 v[124:125], v[120:121], v[124:125]
	v_add_f64_e64 v[116:117], v[108:109], -v[116:117]
	v_add_f64_e64 v[120:121], v[110:111], -v[120:121]
	;; [unrolled: 1-line block ×4, first 2 shown]
	v_add_f64_e32 v[164:165], v[62:63], v[74:75]
	v_add_f64_e32 v[166:167], v[152:153], v[100:101]
	v_add_f64_e64 v[74:75], v[142:143], -v[138:139]
	v_add_f64_e64 v[100:101], v[62:63], -v[140:141]
	s_wait_alu 0xfffe
	v_mul_f64_e32 v[106:107], s[18:19], v[132:133]
	v_add_f64_e32 v[122:123], v[72:73], v[122:123]
	v_add_f64_e32 v[126:127], v[118:119], v[126:127]
	v_add_f64_e64 v[118:119], v[118:119], -v[150:151]
	v_add_f64_e64 v[72:73], v[140:141], -v[136:137]
	v_add_f64_e32 v[140:141], v[104:105], v[60:61]
	v_mul_f64_e32 v[112:113], s[14:15], v[112:113]
	v_mul_f64_e32 v[128:129], s[14:15], v[128:129]
	;; [unrolled: 1-line block ×11, first 2 shown]
	s_mov_b32 s14, 0x5476071b
	s_mov_b32 s15, 0x3fe77f67
	s_wait_alu 0xfffe
	s_mov_b32 s22, s14
	v_add_f64_e32 v[60:61], v[84:85], v[164:165]
	v_add_f64_e32 v[62:63], v[86:87], v[166:167]
	v_mul_f64_e32 v[84:85], s[16:17], v[172:173]
	v_add_f64_e64 v[86:87], v[152:153], -v[142:143]
	s_mov_b32 s16, 0xb247c609
	s_mov_b32 s17, 0x3fd5d0dc
	s_wait_alu 0xfffe
	s_mov_b32 s24, s16
	v_add_f64_e32 v[136:137], v[92:93], v[122:123]
	v_add_f64_e32 v[138:139], v[94:95], v[126:127]
	v_mul_f64_e32 v[150:151], s[10:11], v[118:119]
	v_add_f64_e32 v[94:95], v[174:175], v[14:15]
	v_add_f64_e32 v[92:93], v[140:141], v[12:13]
	;; [unrolled: 1-line block ×4, first 2 shown]
	v_fma_f64 v[124:125], v[100:101], s[10:11], v[112:113]
	v_fma_f64 v[140:141], v[72:73], s[22:23], -v[112:113]
	v_fma_f64 v[142:143], v[74:75], s[22:23], -v[128:129]
	v_fma_f64 v[108:109], v[178:179], s[16:17], v[102:103]
	s_wait_alu 0xfffe
	v_fma_f64 v[114:115], v[176:177], s[24:25], -v[106:107]
	v_fma_f64 v[152:153], v[178:179], s[24:25], -v[104:105]
	v_fma_f64 v[168:169], v[170:171], s[10:11], v[130:131]
	v_fma_f64 v[170:171], v[116:117], s[16:17], v[132:133]
	;; [unrolled: 1-line block ×3, first 2 shown]
	v_fma_f64 v[132:133], v[160:161], s[18:19], -v[132:133]
	v_fma_f64 v[134:135], v[162:163], s[18:19], -v[134:135]
	;; [unrolled: 1-line block ×4, first 2 shown]
	v_fma_f64 v[156:157], v[118:119], s[10:11], v[158:159]
	v_fma_f64 v[130:131], v[144:145], s[22:23], -v[130:131]
	v_fma_f64 v[158:159], v[146:147], s[22:23], -v[158:159]
	;; [unrolled: 1-line block ×3, first 2 shown]
	v_fma_f64 v[110:111], v[164:165], s[20:21], v[60:61]
	v_fma_f64 v[112:113], v[166:167], s[20:21], v[62:63]
	;; [unrolled: 1-line block ×4, first 2 shown]
	s_mov_b32 s16, 0x37c3f68c
	s_mov_b32 s17, 0x3fdc38aa
	v_fma_f64 v[160:161], v[122:123], s[20:21], v[136:137]
	v_fma_f64 v[126:127], v[126:127], s[20:21], v[138:139]
	v_fma_f64 v[146:147], v[146:147], s[14:15], -v[150:151]
	s_wait_alu 0xfffe
	v_fma_f64 v[108:109], v[94:95], s[16:17], v[108:109]
	v_fma_f64 v[116:117], v[92:93], s[16:17], v[114:115]
	;; [unrolled: 1-line block ×9, first 2 shown]
	v_add_f64_e32 v[120:121], v[140:141], v[110:111]
	v_add_f64_e32 v[122:123], v[142:143], v[112:113]
	;; [unrolled: 1-line block ×3, first 2 shown]
	v_fma_f64 v[132:133], v[92:93], s[16:17], v[148:149]
	v_add_f64_e32 v[134:135], v[128:129], v[112:113]
	v_add_f64_e32 v[154:155], v[144:145], v[160:161]
	;; [unrolled: 1-line block ×7, first 2 shown]
	v_add_f64_e64 v[128:129], v[120:121], -v[114:115]
	v_add_f64_e32 v[130:131], v[116:117], v[122:123]
	v_add_f64_e64 v[124:125], v[118:119], -v[108:109]
	v_add_f64_e64 v[148:149], v[154:155], -v[152:153]
	v_add_f64_e32 v[152:153], v[152:153], v[154:155]
	v_add_f64_e64 v[142:143], v[170:171], -v[162:163]
	v_add_f64_e32 v[150:151], v[166:167], v[126:127]
	;; [unrolled: 2-line block ×3, first 2 shown]
	v_add_f64_e32 v[140:141], v[164:165], v[168:169]
	v_add_f64_e32 v[144:145], v[14:15], v[156:157]
	v_add_f64_e64 v[146:147], v[158:159], -v[12:13]
	v_add_f64_e64 v[156:157], v[156:157], -v[14:15]
	v_add_f64_e32 v[158:159], v[12:13], v[158:159]
	v_add_f64_e64 v[160:161], v[168:169], -v[164:165]
	v_add_f64_e32 v[162:163], v[162:163], v[170:171]
	ds_store_b128 v249, v[136:139]
	ds_store_b128 v249, v[140:143] offset:544
	ds_store_b128 v249, v[144:147] offset:1088
	ds_store_b128 v249, v[148:151] offset:1632
	ds_store_b128 v249, v[152:155] offset:2176
	ds_store_b128 v249, v[156:159] offset:2720
	ds_store_b128 v249, v[160:163] offset:3264
	s_mov_b32 s1, exec_lo
	scratch_load_b128 v[16:19], off, off offset:12 ; 16-byte Folded Reload
	s_wait_alu 0xfffe
	s_and_b32 s18, s1, s0
	s_wait_alu 0xfffe
	s_mov_b32 exec_lo, s18
	s_cbranch_execz .LBB0_11
; %bb.10:
	s_clause 0x1
	scratch_load_b32 v0, off, off offset:172
	scratch_load_b32 v1, off, off offset:180
	v_mul_f64_e32 v[12:13], s[10:11], v[86:87]
	v_mul_f64_e32 v[14:15], s[14:15], v[74:75]
	v_mul_f64_e32 v[74:75], s[10:11], v[100:101]
	v_mul_f64_e32 v[72:73], s[14:15], v[72:73]
	v_mul_f64_e32 v[86:87], s[16:17], v[92:93]
	v_mul_f64_e32 v[92:93], s[16:17], v[94:95]
	v_add_f64_e64 v[84:85], v[106:107], -v[84:85]
	v_add_f64_e64 v[12:13], v[14:15], -v[12:13]
	;; [unrolled: 1-line block ×5, first 2 shown]
	v_add_f64_e32 v[100:101], v[86:87], v[84:85]
	v_add_f64_e64 v[86:87], v[134:135], -v[132:133]
	v_add_f64_e32 v[84:85], v[108:109], v[118:119]
	v_add_f64_e32 v[12:13], v[12:13], v[112:113]
	;; [unrolled: 1-line block ×5, first 2 shown]
	s_delay_alu instid0(VALU_DEP_4) | instskip(SKIP_1) | instid1(VALU_DEP_4)
	v_add_f64_e64 v[94:95], v[12:13], -v[100:101]
	v_add_f64_e32 v[102:103], v[100:101], v[12:13]
	v_add_f64_e64 v[100:101], v[92:93], -v[14:15]
	v_add_f64_e32 v[92:93], v[14:15], v[92:93]
	s_wait_loadcnt 0x1
	v_and_b32_e32 v0, 0xffff, v0
	s_delay_alu instid0(VALU_DEP_1) | instskip(SKIP_1) | instid1(VALU_DEP_1)
	v_mul_u32_u24_e32 v0, 0xee, v0
	s_wait_loadcnt 0x0
	v_add_lshl_u32 v0, v0, v1, 4
	ds_store_b128 v0, v[60:63]
	ds_store_b128 v0, v[84:87] offset:544
	ds_store_b128 v0, v[72:75] offset:1088
	;; [unrolled: 1-line block ×6, first 2 shown]
.LBB0_11:
	s_or_b32 exec_lo, exec_lo, s1
	scratch_load_b32 v0, off, off           ; 4-byte Folded Reload
	global_wb scope:SCOPE_SE
	s_wait_loadcnt_dscnt 0x0
	s_barrier_signal -1
	s_barrier_wait -1
	global_inv scope:SCOPE_SE
	s_mov_b32 s11, 0xbfebb67a
	v_mad_co_u64_u32 v[12:13], null, 0x50, v0, s[2:3]
	s_mov_b32 s2, 0xe8584caa
	s_mov_b32 s3, 0x3febb67a
	s_wait_alu 0xfffe
	s_mov_b32 s10, s2
	s_clause 0x9
	global_load_b128 v[112:115], v[12:13], off offset:3568
	global_load_b128 v[0:3], v[12:13], off offset:3600
	;; [unrolled: 1-line block ×10, first 2 shown]
	ds_load_b128 v[132:135], v196 offset:11424
	ds_load_b128 v[136:139], v196 offset:19040
	;; [unrolled: 1-line block ×6, first 2 shown]
	s_wait_loadcnt_dscnt 0x905
	v_mul_f64_e32 v[12:13], v[134:135], v[114:115]
	v_mul_f64_e32 v[14:15], v[132:133], v[114:115]
	s_wait_loadcnt_dscnt 0x804
	v_mul_f64_e32 v[156:157], v[136:137], v[2:3]
	v_mul_f64_e32 v[158:159], v[138:139], v[2:3]
	;; [unrolled: 3-line block ×6, first 2 shown]
	s_clause 0x1
	scratch_store_b128 off, v[0:3], off offset:140
	scratch_store_b128 off, v[20:23], off offset:156
	v_fma_f64 v[12:13], v[132:133], v[112:113], -v[12:13]
	v_fma_f64 v[14:15], v[134:135], v[112:113], v[14:15]
	v_fma_f64 v[156:157], v[138:139], v[0:1], v[156:157]
	v_fma_f64 v[158:159], v[136:137], v[0:1], -v[158:159]
	v_fma_f64 v[160:161], v[140:141], v[120:121], -v[160:161]
	v_fma_f64 v[162:163], v[142:143], v[120:121], v[162:163]
	v_fma_f64 v[164:165], v[146:147], v[20:21], v[164:165]
	v_fma_f64 v[166:167], v[144:145], v[20:21], -v[166:167]
	ds_load_b128 v[132:135], v196 offset:7616
	ds_load_b128 v[136:139], v196 offset:15232
	;; [unrolled: 1-line block ×4, first 2 shown]
	v_fma_f64 v[148:149], v[148:149], v[100:101], -v[168:169]
	v_fma_f64 v[150:151], v[150:151], v[100:101], v[170:171]
	v_fma_f64 v[152:153], v[152:153], v[72:73], -v[172:173]
	v_fma_f64 v[154:155], v[154:155], v[72:73], v[174:175]
	s_wait_loadcnt_dscnt 0x303
	v_mul_f64_e32 v[176:177], v[134:135], v[118:119]
	v_mul_f64_e32 v[178:179], v[132:133], v[118:119]
	s_wait_loadcnt_dscnt 0x202
	v_mul_f64_e32 v[180:181], v[138:139], v[110:111]
	v_mul_f64_e32 v[182:183], v[136:137], v[110:111]
	;; [unrolled: 3-line block ×4, first 2 shown]
	v_add_f64_e32 v[168:169], v[14:15], v[156:157]
	v_add_f64_e32 v[170:171], v[12:13], v[158:159]
	;; [unrolled: 1-line block ×4, first 2 shown]
	v_fma_f64 v[176:177], v[132:133], v[116:117], -v[176:177]
	v_fma_f64 v[178:179], v[134:135], v[116:117], v[178:179]
	v_fma_f64 v[180:181], v[136:137], v[108:109], -v[180:181]
	v_fma_f64 v[182:183], v[138:139], v[108:109], v[182:183]
	v_add_f64_e64 v[132:133], v[14:15], -v[156:157]
	v_add_f64_e64 v[134:135], v[12:13], -v[158:159]
	v_fma_f64 v[140:141], v[140:141], v[76:77], -v[184:185]
	v_fma_f64 v[142:143], v[142:143], v[76:77], v[186:187]
	v_fma_f64 v[144:145], v[144:145], v[80:81], -v[188:189]
	v_fma_f64 v[146:147], v[146:147], v[80:81], v[190:191]
	v_add_f64_e32 v[12:13], v[148:149], v[12:13]
	v_add_f64_e32 v[14:15], v[150:151], v[14:15]
	v_fma_f64 v[136:137], v[168:169], -0.5, v[150:151]
	v_fma_f64 v[138:139], v[170:171], -0.5, v[148:149]
	v_add_f64_e64 v[168:169], v[162:163], -v[164:165]
	v_add_f64_e64 v[170:171], v[160:161], -v[166:167]
	v_fma_f64 v[172:173], v[172:173], -0.5, v[154:155]
	v_fma_f64 v[174:175], v[174:175], -0.5, v[152:153]
	v_add_f64_e32 v[152:153], v[152:153], v[160:161]
	v_add_f64_e32 v[154:155], v[154:155], v[162:163]
	;; [unrolled: 1-line block ×4, first 2 shown]
	v_add_f64_e64 v[160:161], v[176:177], -v[180:181]
	v_add_f64_e32 v[197:198], v[140:141], v[144:145]
	v_add_f64_e32 v[199:200], v[142:143], v[146:147]
	;; [unrolled: 1-line block ×4, first 2 shown]
	s_wait_alu 0xfffe
	v_fma_f64 v[188:189], v[134:135], s[10:11], v[136:137]
	v_fma_f64 v[190:191], v[132:133], s[10:11], v[138:139]
	;; [unrolled: 1-line block ×8, first 2 shown]
	ds_load_b128 v[132:135], v196
	ds_load_b128 v[136:139], v196 offset:1904
	v_add_f64_e64 v[174:175], v[178:179], -v[182:183]
	s_wait_dscnt 0x1
	v_add_f64_e32 v[172:173], v[132:133], v[176:177]
	v_add_f64_e32 v[178:179], v[134:135], v[178:179]
	s_wait_dscnt 0x0
	v_add_f64_e32 v[148:149], v[136:137], v[140:141]
	v_add_f64_e32 v[150:151], v[138:139], v[142:143]
	v_fma_f64 v[132:133], v[184:185], -0.5, v[132:133]
	v_fma_f64 v[134:135], v[186:187], -0.5, v[134:135]
	v_add_f64_e64 v[142:143], v[142:143], -v[146:147]
	v_fma_f64 v[136:137], v[197:198], -0.5, v[136:137]
	v_add_f64_e64 v[140:141], v[140:141], -v[144:145]
	v_fma_f64 v[138:139], v[199:200], -0.5, v[138:139]
	v_mul_f64_e32 v[162:163], s[2:3], v[188:189]
	v_mul_f64_e32 v[176:177], -0.5, v[190:191]
	v_mul_f64_e32 v[184:185], s[10:11], v[192:193]
	v_mul_f64_e32 v[186:187], -0.5, v[194:195]
	v_mul_f64_e32 v[197:198], s[2:3], v[201:202]
	v_mul_f64_e32 v[199:200], s[10:11], v[203:204]
	v_mul_f64_e32 v[205:206], -0.5, v[168:169]
	v_mul_f64_e32 v[207:208], -0.5, v[170:171]
	v_add_f64_e32 v[172:173], v[172:173], v[180:181]
	v_add_f64_e32 v[178:179], v[178:179], v[182:183]
	;; [unrolled: 1-line block ×6, first 2 shown]
	v_fma_f64 v[164:165], v[174:175], s[2:3], v[132:133]
	v_fma_f64 v[166:167], v[174:175], s[10:11], v[132:133]
	;; [unrolled: 1-line block ×4, first 2 shown]
	v_fma_f64 v[192:193], v[192:193], 0.5, v[162:163]
	v_fma_f64 v[194:195], v[194:195], s[2:3], v[176:177]
	v_fma_f64 v[188:189], v[188:189], 0.5, v[184:185]
	v_fma_f64 v[186:187], v[190:191], s[10:11], v[186:187]
	v_fma_f64 v[190:191], v[142:143], s[2:3], v[136:137]
	v_fma_f64 v[136:137], v[142:143], s[10:11], v[136:137]
	v_fma_f64 v[142:143], v[140:141], s[10:11], v[138:139]
	v_fma_f64 v[138:139], v[140:141], s[2:3], v[138:139]
	v_fma_f64 v[140:141], v[203:204], 0.5, v[197:198]
	v_fma_f64 v[197:198], v[201:202], 0.5, v[199:200]
	v_fma_f64 v[199:200], v[170:171], s[2:3], v[205:206]
	v_fma_f64 v[201:202], v[168:169], s[10:11], v[207:208]
	v_add_f64_e32 v[132:133], v[172:173], v[12:13]
	v_add_f64_e32 v[134:135], v[178:179], v[14:15]
	v_add_f64_e64 v[160:161], v[172:173], -v[12:13]
	v_add_f64_e64 v[162:163], v[178:179], -v[14:15]
	v_add_f64_e32 v[172:173], v[144:145], v[148:149]
	v_add_f64_e32 v[174:175], v[146:147], v[150:151]
	v_add_f64_e64 v[152:153], v[144:145], -v[148:149]
	v_add_f64_e64 v[154:155], v[146:147], -v[150:151]
	v_add_f64_e32 v[156:157], v[164:165], v[192:193]
	v_add_f64_e32 v[168:169], v[166:167], v[194:195]
	;; [unrolled: 1-line block ×4, first 2 shown]
	v_add_f64_e64 v[176:177], v[164:165], -v[192:193]
	v_add_f64_e64 v[184:185], v[166:167], -v[194:195]
	;; [unrolled: 1-line block ×4, first 2 shown]
	v_add_f64_e32 v[180:181], v[190:191], v[140:141]
	v_add_f64_e32 v[182:183], v[142:143], v[197:198]
	;; [unrolled: 1-line block ×4, first 2 shown]
	v_add_f64_e64 v[148:149], v[190:191], -v[140:141]
	v_add_f64_e64 v[150:151], v[142:143], -v[197:198]
	;; [unrolled: 1-line block ×4, first 2 shown]
	ds_store_b128 v196, v[132:135]
	ds_store_b128 v196, v[172:175] offset:1904
	ds_store_b128 v196, v[160:163] offset:11424
	;; [unrolled: 1-line block ×11, first 2 shown]
	global_wb scope:SCOPE_SE
	s_wait_storecnt_dscnt 0x0
	s_barrier_signal -1
	s_barrier_wait -1
	global_inv scope:SCOPE_SE
	s_and_saveexec_b32 s1, vcc_lo
	s_cbranch_execz .LBB0_13
; %bb.12:
	global_load_b128 v[136:139], v255, s[8:9] offset:22848
	s_add_nc_u64 s[2:3], s[8:9], 0x5940
	s_clause 0x6
	global_load_b128 v[140:143], v255, s[2:3] offset:1344
	global_load_b128 v[188:191], v255, s[2:3] offset:2688
	;; [unrolled: 1-line block ×7, first 2 shown]
	ds_load_b128 v[205:208], v196
	s_wait_loadcnt_dscnt 0x700
	v_mul_f64_e32 v[12:13], v[207:208], v[138:139]
	v_mul_f64_e32 v[14:15], v[205:206], v[138:139]
	s_delay_alu instid0(VALU_DEP_2) | instskip(NEXT) | instid1(VALU_DEP_2)
	v_fma_f64 v[205:206], v[205:206], v[136:137], -v[12:13]
	v_fma_f64 v[207:208], v[207:208], v[136:137], v[14:15]
	ds_store_b128 v196, v[205:208]
	ds_load_b128 v[136:139], v255 offset:1344
	ds_load_b128 v[205:208], v255 offset:2688
	s_wait_loadcnt_dscnt 0x601
	v_mul_f64_e32 v[12:13], v[138:139], v[142:143]
	v_mul_f64_e32 v[14:15], v[136:137], v[142:143]
	s_delay_alu instid0(VALU_DEP_2) | instskip(NEXT) | instid1(VALU_DEP_2)
	v_fma_f64 v[136:137], v[136:137], v[140:141], -v[12:13]
	v_fma_f64 v[138:139], v[138:139], v[140:141], v[14:15]
	s_wait_loadcnt_dscnt 0x500
	v_mul_f64_e32 v[12:13], v[207:208], v[190:191]
	v_mul_f64_e32 v[14:15], v[205:206], v[190:191]
	ds_load_b128 v[140:143], v255 offset:4032
	v_fma_f64 v[205:206], v[205:206], v[188:189], -v[12:13]
	v_fma_f64 v[207:208], v[207:208], v[188:189], v[14:15]
	ds_load_b128 v[188:191], v255 offset:5376
	s_wait_loadcnt_dscnt 0x401
	v_mul_f64_e32 v[12:13], v[142:143], v[194:195]
	v_mul_f64_e32 v[14:15], v[140:141], v[194:195]
	s_delay_alu instid0(VALU_DEP_2) | instskip(NEXT) | instid1(VALU_DEP_2)
	v_fma_f64 v[140:141], v[140:141], v[192:193], -v[12:13]
	v_fma_f64 v[142:143], v[142:143], v[192:193], v[14:15]
	s_wait_loadcnt_dscnt 0x300
	v_mul_f64_e32 v[12:13], v[190:191], v[199:200]
	v_mul_f64_e32 v[14:15], v[188:189], v[199:200]
	ds_load_b128 v[192:195], v255 offset:6720
	v_fma_f64 v[188:189], v[188:189], v[197:198], -v[12:13]
	v_fma_f64 v[190:191], v[190:191], v[197:198], v[14:15]
	;; [unrolled: 13-line block ×3, first 2 shown]
	ds_load_b128 v[209:212], v255 offset:10752
	s_wait_loadcnt_dscnt 0x1
	v_mul_f64_e32 v[12:13], v[203:204], v[215:216]
	v_mul_f64_e32 v[14:15], v[201:202], v[215:216]
	s_delay_alu instid0(VALU_DEP_2) | instskip(NEXT) | instid1(VALU_DEP_2)
	v_fma_f64 v[201:202], v[201:202], v[213:214], -v[12:13]
	v_fma_f64 v[203:204], v[203:204], v[213:214], v[14:15]
	s_clause 0x1
	global_load_b128 v[213:216], v255, s[2:3] offset:10752
	global_load_b128 v[217:220], v255, s[2:3] offset:12096
	s_wait_loadcnt_dscnt 0x100
	v_mul_f64_e32 v[12:13], v[211:212], v[215:216]
	v_mul_f64_e32 v[14:15], v[209:210], v[215:216]
	s_delay_alu instid0(VALU_DEP_2) | instskip(NEXT) | instid1(VALU_DEP_2)
	v_fma_f64 v[209:210], v[209:210], v[213:214], -v[12:13]
	v_fma_f64 v[211:212], v[211:212], v[213:214], v[14:15]
	ds_load_b128 v[213:216], v255 offset:12096
	ds_load_b128 v[221:224], v255 offset:13440
	s_wait_loadcnt_dscnt 0x1
	v_mul_f64_e32 v[12:13], v[215:216], v[219:220]
	v_mul_f64_e32 v[14:15], v[213:214], v[219:220]
	s_delay_alu instid0(VALU_DEP_2) | instskip(NEXT) | instid1(VALU_DEP_2)
	v_fma_f64 v[213:214], v[213:214], v[217:218], -v[12:13]
	v_fma_f64 v[215:216], v[215:216], v[217:218], v[14:15]
	s_clause 0x1
	global_load_b128 v[217:220], v255, s[2:3] offset:13440
	global_load_b128 v[225:228], v255, s[2:3] offset:14784
	ds_load_b128 v[229:232], v255 offset:14784
	ds_load_b128 v[233:236], v255 offset:16128
	s_wait_loadcnt_dscnt 0x102
	v_mul_f64_e32 v[12:13], v[223:224], v[219:220]
	v_mul_f64_e32 v[14:15], v[221:222], v[219:220]
	s_delay_alu instid0(VALU_DEP_2) | instskip(SKIP_2) | instid1(VALU_DEP_3)
	v_fma_f64 v[219:220], v[221:222], v[217:218], -v[12:13]
	s_wait_loadcnt_dscnt 0x1
	v_mul_f64_e32 v[12:13], v[231:232], v[227:228]
	v_fma_f64 v[221:222], v[223:224], v[217:218], v[14:15]
	v_mul_f64_e32 v[14:15], v[229:230], v[227:228]
	s_delay_alu instid0(VALU_DEP_3)
	v_fma_f64 v[223:224], v[229:230], v[225:226], -v[12:13]
	s_clause 0x1
	global_load_b128 v[227:230], v255, s[2:3] offset:16128
	global_load_b128 v[237:240], v255, s[2:3] offset:17472
	v_fma_f64 v[225:226], v[231:232], v[225:226], v[14:15]
	s_wait_loadcnt_dscnt 0x100
	v_mul_f64_e32 v[12:13], v[235:236], v[229:230]
	v_mul_f64_e32 v[14:15], v[233:234], v[229:230]
	s_delay_alu instid0(VALU_DEP_2) | instskip(NEXT) | instid1(VALU_DEP_2)
	v_fma_f64 v[229:230], v[233:234], v[227:228], -v[12:13]
	v_fma_f64 v[231:232], v[235:236], v[227:228], v[14:15]
	ds_load_b128 v[233:236], v255 offset:17472
	ds_load_b128 v[241:244], v255 offset:18816
	s_wait_loadcnt_dscnt 0x1
	v_mul_f64_e32 v[12:13], v[235:236], v[239:240]
	v_mul_f64_e32 v[14:15], v[233:234], v[239:240]
	s_delay_alu instid0(VALU_DEP_2) | instskip(NEXT) | instid1(VALU_DEP_2)
	v_fma_f64 v[233:234], v[233:234], v[237:238], -v[12:13]
	v_fma_f64 v[235:236], v[235:236], v[237:238], v[14:15]
	s_clause 0x1
	global_load_b128 v[237:240], v255, s[2:3] offset:18816
	global_load_b128 v[245:248], v255, s[2:3] offset:20160
	s_wait_loadcnt_dscnt 0x100
	v_mul_f64_e32 v[12:13], v[243:244], v[239:240]
	v_mul_f64_e32 v[14:15], v[241:242], v[239:240]
	s_delay_alu instid0(VALU_DEP_2) | instskip(NEXT) | instid1(VALU_DEP_2)
	v_fma_f64 v[239:240], v[241:242], v[237:238], -v[12:13]
	v_fma_f64 v[241:242], v[243:244], v[237:238], v[14:15]
	ds_load_b128 v[250:253], v255 offset:20160
	ds_load_b128 v[12:15], v255 offset:21504
	s_wait_loadcnt_dscnt 0x1
	v_mul_f64_e32 v[217:218], v[252:253], v[247:248]
	v_mul_f64_e32 v[227:228], v[250:251], v[247:248]
	s_delay_alu instid0(VALU_DEP_2) | instskip(NEXT) | instid1(VALU_DEP_2)
	v_fma_f64 v[243:244], v[250:251], v[245:246], -v[217:218]
	v_fma_f64 v[245:246], v[252:253], v[245:246], v[227:228]
	global_load_b128 v[250:253], v255, s[2:3] offset:21504
	s_wait_loadcnt_dscnt 0x0
	v_mul_f64_e32 v[217:218], v[14:15], v[252:253]
	v_mul_f64_e32 v[227:228], v[12:13], v[252:253]
	s_delay_alu instid0(VALU_DEP_2) | instskip(NEXT) | instid1(VALU_DEP_2)
	v_fma_f64 v[12:13], v[12:13], v[250:251], -v[217:218]
	v_fma_f64 v[14:15], v[14:15], v[250:251], v[227:228]
	ds_store_b128 v255, v[136:139] offset:1344
	ds_store_b128 v255, v[205:208] offset:2688
	;; [unrolled: 1-line block ×16, first 2 shown]
.LBB0_13:
	s_wait_alu 0xfffe
	s_or_b32 exec_lo, exec_lo, s1
	global_wb scope:SCOPE_SE
	s_wait_dscnt 0x0
	s_barrier_signal -1
	s_barrier_wait -1
	global_inv scope:SCOPE_SE
	s_and_saveexec_b32 s1, vcc_lo
	s_cbranch_execz .LBB0_15
; %bb.14:
	ds_load_b128 v[132:135], v196
	ds_load_b128 v[156:159], v196 offset:1344
	ds_load_b128 v[168:171], v196 offset:2688
	;; [unrolled: 1-line block ×16, first 2 shown]
.LBB0_15:
	s_wait_alu 0xfffe
	s_or_b32 exec_lo, exec_lo, s1
	s_wait_dscnt 0x0
	v_add_f64_e64 v[247:248], v[158:159], -v[18:19]
	s_mov_b32 s14, 0xeb564b22
	s_mov_b32 s15, 0xbfefdd0d
	v_add_f64_e32 v[251:252], v[156:157], v[16:17]
	v_add_f64_e64 v[0:1], v[170:171], -v[6:7]
	s_mov_b32 s2, 0x3259b75e
	s_mov_b32 s16, 0xacd6c6b4
	;; [unrolled: 1-line block ×4, first 2 shown]
	v_add_f64_e32 v[221:222], v[168:169], v[4:5]
	v_add_f64_e32 v[245:246], v[158:159], v[18:19]
	s_mov_b32 s10, 0x7faef3
	s_mov_b32 s11, 0xbfef7484
	v_add_f64_e64 v[253:254], v[156:157], -v[16:17]
	v_add_f64_e32 v[57:58], v[170:171], v[6:7]
	v_add_f64_e64 v[22:23], v[168:169], -v[4:5]
	s_mov_b32 s30, 0x923c349f
	s_mov_b32 s31, 0xbfeec746
	;; [unrolled: 1-line block ×3, first 2 shown]
	s_wait_alu 0xfffe
	s_mov_b32 s20, s30
	v_add_f64_e32 v[192:193], v[160:161], v[8:9]
	v_add_f64_e32 v[59:60], v[162:163], v[10:11]
	s_mov_b32 s18, 0xc61f0d01
	s_mov_b32 s19, 0xbfd183b1
	v_add_f64_e64 v[30:31], v[160:161], -v[8:9]
	v_add_f64_e64 v[26:27], v[178:179], -v[126:127]
	s_mov_b32 s24, 0x5d8e7cdc
	s_mov_b32 s25, 0x3fd71e95
	v_add_f64_e32 v[199:200], v[176:177], v[124:125]
	v_add_f64_e32 v[61:62], v[178:179], v[126:127]
	s_mov_b32 s22, 0x370991
	s_mov_b32 s23, 0x3fedd6d0
	v_add_f64_e64 v[34:35], v[176:177], -v[124:125]
	v_add_f64_e64 v[32:33], v[186:187], -v[130:131]
	s_mov_b32 s46, 0x7c9e640b
	s_mov_b32 s47, 0xbfeca52d
	v_add_f64_e32 v[207:208], v[184:185], v[128:129]
	v_add_f64_e32 v[24:25], v[186:187], v[130:131]
	v_mul_f64_e32 v[90:91], s[14:15], v[247:248]
	s_mov_b32 s26, 0x2b2883cd
	s_mov_b32 s27, 0x3fdc86fa
	v_add_f64_e64 v[40:41], v[184:185], -v[128:129]
	v_mul_f64_e32 v[104:105], s[16:17], v[0:1]
	v_add_f64_e64 v[36:37], v[174:175], -v[146:147]
	s_mov_b32 s49, 0xbfe0d888
	s_mov_b32 s48, s36
	v_add_f64_e32 v[215:216], v[172:173], v[144:145]
	v_add_f64_e32 v[94:95], v[174:175], v[146:147]
	v_mul_f64_e32 v[2:3], s[2:3], v[245:246]
	s_mov_b32 s28, 0x910ea3b9
	s_mov_b32 s29, 0xbfeb34fa
	v_add_f64_e64 v[42:43], v[172:173], -v[144:145]
	v_mul_f64_e32 v[106:107], s[10:11], v[57:58]
	v_add_f64_e64 v[38:39], v[182:183], -v[150:151]
	s_mov_b32 s42, 0x6c9a05f6
	s_mov_b32 s43, 0x3fe9895b
	v_add_f64_e32 v[92:93], v[180:181], v[148:149]
	v_add_f64_e32 v[86:87], v[182:183], v[150:151]
	s_mov_b32 s34, 0x6ed5f1bb
	s_wait_alu 0xfffe
	v_mul_f64_e32 v[203:204], s[18:19], v[59:60]
	s_mov_b32 s35, 0xbfe348c8
	v_add_f64_e64 v[20:21], v[180:181], -v[148:149]
	v_add_f64_e64 v[28:29], v[166:167], -v[154:155]
	v_mul_f64_e32 v[197:198], s[24:25], v[26:27]
	s_mov_b32 s44, 0x2a9d6da3
	s_mov_b32 s45, 0x3fe58eea
	v_add_f64_e32 v[227:228], v[164:165], v[152:153]
	v_mul_f64_e32 v[211:212], s[22:23], v[61:62]
	v_add_f64_e32 v[229:230], v[166:167], v[154:155]
	s_mov_b32 s38, 0x75d4884
	s_mov_b32 s39, 0x3fe7a5f6
	v_mul_f64_e32 v[205:206], s[46:47], v[32:33]
	v_add_f64_e64 v[84:85], v[164:165], -v[152:153]
	v_mul_f64_e32 v[241:242], s[36:37], v[0:1]
	v_mul_f64_e32 v[233:234], s[28:29], v[57:58]
	;; [unrolled: 1-line block ×3, first 2 shown]
	v_fma_f64 v[12:13], v[251:252], s[2:3], -v[90:91]
	s_wait_alu 0xfffe
	v_mul_f64_e32 v[239:240], s[38:39], v[59:60]
	v_mul_f64_e32 v[217:218], s[46:47], v[26:27]
	;; [unrolled: 1-line block ×3, first 2 shown]
	v_fma_f64 v[14:15], v[221:222], s[10:11], -v[104:105]
	v_mul_f64_e32 v[223:224], s[48:49], v[36:37]
	s_mov_b32 s53, 0x3fefdd0d
	s_mov_b32 s52, s14
	;; [unrolled: 1-line block ×3, first 2 shown]
	v_mul_f64_e32 v[243:244], s[28:29], v[94:95]
	scratch_store_b64 off, v[2:3], off offset:316 ; 8-byte Folded Spill
	s_wait_alu 0xfffe
	v_mul_f64_e32 v[231:232], s[52:53], v[36:37]
	s_mov_b32 s50, s24
	s_mov_b32 s41, 0xbfe9895b
	v_fma_f64 v[136:137], v[22:23], s[16:17], v[106:107]
	v_mul_f64_e32 v[225:226], s[42:43], v[38:39]
	s_wait_alu 0xfffe
	v_mul_f64_e32 v[235:236], s[50:51], v[38:39]
	s_mov_b32 s40, s42
	v_mul_f64_e32 v[201:202], s[34:35], v[86:87]
	v_mul_f64_e32 v[194:195], s[44:45], v[28:29]
	s_wait_alu 0xfffe
	v_mul_f64_e32 v[237:238], s[40:41], v[28:29]
	v_mul_f64_e32 v[219:220], s[38:39], v[229:230]
	v_fma_f64 v[140:141], v[22:23], s[36:37], v[233:234]
	v_add_f64_e32 v[12:13], v[132:133], v[12:13]
	s_delay_alu instid0(VALU_DEP_1) | instskip(SKIP_2) | instid1(VALU_DEP_2)
	v_add_f64_e32 v[12:13], v[14:15], v[12:13]
	v_fma_f64 v[14:15], v[253:254], s[14:15], v[2:3]
	v_add_f64_e64 v[2:3], v[162:163], -v[10:11]
	v_add_f64_e32 v[14:15], v[134:135], v[14:15]
	s_delay_alu instid0(VALU_DEP_2) | instskip(SKIP_1) | instid1(VALU_DEP_3)
	v_mul_f64_e32 v[188:189], s[20:21], v[2:3]
	v_mul_f64_e32 v[190:191], s[44:45], v[2:3]
	v_add_f64_e32 v[14:15], v[136:137], v[14:15]
	s_delay_alu instid0(VALU_DEP_3) | instskip(NEXT) | instid1(VALU_DEP_1)
	v_fma_f64 v[136:137], v[192:193], s[18:19], -v[188:189]
	v_add_f64_e32 v[12:13], v[136:137], v[12:13]
	v_fma_f64 v[136:137], v[30:31], s[20:21], v[203:204]
	s_delay_alu instid0(VALU_DEP_1) | instskip(SKIP_1) | instid1(VALU_DEP_1)
	v_add_f64_e32 v[14:15], v[136:137], v[14:15]
	v_fma_f64 v[136:137], v[199:200], s[22:23], -v[197:198]
	v_add_f64_e32 v[12:13], v[136:137], v[12:13]
	v_fma_f64 v[136:137], v[34:35], s[24:25], v[211:212]
	s_delay_alu instid0(VALU_DEP_1) | instskip(SKIP_1) | instid1(VALU_DEP_1)
	v_add_f64_e32 v[14:15], v[136:137], v[14:15]
	;; [unrolled: 5-line block ×5, first 2 shown]
	v_fma_f64 v[136:137], v[227:228], s[38:39], -v[194:195]
	v_add_f64_e32 v[136:137], v[136:137], v[12:13]
	v_fma_f64 v[12:13], v[84:85], s[44:45], v[219:220]
	s_delay_alu instid0(VALU_DEP_1) | instskip(SKIP_4) | instid1(VALU_DEP_1)
	v_add_f64_e32 v[138:139], v[12:13], v[14:15]
	v_mul_f64_e32 v[12:13], s[30:31], v[247:248]
	v_fma_f64 v[14:15], v[221:222], s[28:29], -v[241:242]
	scratch_store_b64 off, v[12:13], off offset:324 ; 8-byte Folded Spill
	v_fma_f64 v[12:13], v[251:252], s[18:19], -v[12:13]
	v_add_f64_e32 v[12:13], v[132:133], v[12:13]
	s_delay_alu instid0(VALU_DEP_1) | instskip(SKIP_3) | instid1(VALU_DEP_1)
	v_add_f64_e32 v[12:13], v[14:15], v[12:13]
	v_mul_f64_e32 v[14:15], s[18:19], v[245:246]
	scratch_store_b64 off, v[14:15], off offset:340 ; 8-byte Folded Spill
	v_fma_f64 v[14:15], v[253:254], s[30:31], v[14:15]
	v_add_f64_e32 v[14:15], v[134:135], v[14:15]
	s_delay_alu instid0(VALU_DEP_1) | instskip(SKIP_1) | instid1(VALU_DEP_1)
	v_add_f64_e32 v[14:15], v[140:141], v[14:15]
	v_fma_f64 v[140:141], v[192:193], s[38:39], -v[190:191]
	v_add_f64_e32 v[12:13], v[140:141], v[12:13]
	v_fma_f64 v[140:141], v[30:31], s[44:45], v[239:240]
	s_delay_alu instid0(VALU_DEP_1) | instskip(SKIP_1) | instid1(VALU_DEP_1)
	v_add_f64_e32 v[14:15], v[140:141], v[14:15]
	v_fma_f64 v[140:141], v[199:200], s[26:27], -v[217:218]
	v_add_f64_e32 v[12:13], v[140:141], v[12:13]
	v_mul_f64_e32 v[140:141], s[26:27], v[61:62]
	scratch_store_b64 off, v[140:141], off offset:12 ; 8-byte Folded Spill
	v_fma_f64 v[140:141], v[34:35], s[46:47], v[140:141]
	s_delay_alu instid0(VALU_DEP_1) | instskip(SKIP_1) | instid1(VALU_DEP_1)
	v_add_f64_e32 v[14:15], v[140:141], v[14:15]
	v_fma_f64 v[140:141], v[207:208], s[10:11], -v[209:210]
	v_add_f64_e32 v[12:13], v[140:141], v[12:13]
	v_mul_f64_e32 v[140:141], s[10:11], v[24:25]
	scratch_store_b64 off, v[140:141], off offset:284 ; 8-byte Folded Spill
	;; [unrolled: 7-line block ×5, first 2 shown]
	v_fma_f64 v[12:13], v[84:85], s[40:41], v[12:13]
	global_wb scope:SCOPE_SE
	s_wait_storecnt 0x0
	s_barrier_signal -1
	s_barrier_wait -1
	global_inv scope:SCOPE_SE
	v_add_f64_e32 v[142:143], v[12:13], v[14:15]
	s_and_saveexec_b32 s1, vcc_lo
	s_cbranch_execz .LBB0_17
; %bb.16:
	v_add_f64_e32 v[12:13], v[134:135], v[158:159]
	v_add_f64_e32 v[14:15], v[132:133], v[156:157]
	v_mul_f64_e32 v[158:159], s[48:49], v[247:248]
	s_mov_b32 s57, 0xbfe58eea
	s_mov_b32 s56, s44
	v_mul_f64_e32 v[156:157], s[16:17], v[247:248]
	s_mov_b32 s55, 0x3feca52d
	s_mov_b32 s54, s46
	;; [unrolled: 1-line block ×4, first 2 shown]
	scratch_store_b32 off, v249, off offset:348 ; 4-byte Folded Spill
	v_mul_f64_e32 v[249:250], s[58:59], v[2:3]
	v_add_f64_e32 v[12:13], v[12:13], v[170:171]
	v_add_f64_e32 v[14:15], v[14:15], v[168:169]
	v_fma_f64 v[170:171], v[251:252], s[28:29], -v[158:159]
	v_fma_f64 v[158:159], v[251:252], s[28:29], v[158:159]
	v_fma_f64 v[168:169], v[251:252], s[10:11], -v[156:157]
	v_fma_f64 v[156:157], v[251:252], s[10:11], v[156:157]
	v_add_f64_e32 v[12:13], v[12:13], v[162:163]
	v_add_f64_e32 v[14:15], v[14:15], v[160:161]
	v_mul_f64_e32 v[160:161], s[40:41], v[247:248]
	v_mul_f64_e32 v[162:163], s[46:47], v[247:248]
	v_add_f64_e32 v[158:159], v[132:133], v[158:159]
	v_add_f64_e32 v[168:169], v[132:133], v[168:169]
	;; [unrolled: 1-line block ×5, first 2 shown]
	s_delay_alu instid0(VALU_DEP_2) | instskip(NEXT) | instid1(VALU_DEP_2)
	v_add_f64_e32 v[12:13], v[12:13], v[186:187]
	v_add_f64_e32 v[14:15], v[14:15], v[184:185]
	v_mul_f64_e32 v[184:185], s[40:41], v[36:37]
	s_delay_alu instid0(VALU_DEP_3) | instskip(NEXT) | instid1(VALU_DEP_3)
	v_add_f64_e32 v[12:13], v[12:13], v[174:175]
	v_add_f64_e32 v[14:15], v[14:15], v[172:173]
	v_fma_f64 v[172:173], v[251:252], s[34:35], -v[160:161]
	v_fma_f64 v[160:161], v[251:252], s[34:35], v[160:161]
	v_fma_f64 v[174:175], v[251:252], s[26:27], -v[162:163]
	v_fma_f64 v[162:163], v[251:252], s[26:27], v[162:163]
	v_add_f64_e32 v[12:13], v[12:13], v[182:183]
	v_add_f64_e32 v[14:15], v[14:15], v[180:181]
	s_delay_alu instid0(VALU_DEP_2) | instskip(NEXT) | instid1(VALU_DEP_2)
	v_add_f64_e32 v[12:13], v[12:13], v[166:167]
	v_add_f64_e32 v[14:15], v[14:15], v[164:165]
	v_mul_f64_e32 v[164:165], s[50:51], v[247:248]
	s_wait_alu 0xfffe
	v_mul_f64_e32 v[166:167], s[56:57], v[247:248]
	s_delay_alu instid0(VALU_DEP_4) | instskip(NEXT) | instid1(VALU_DEP_4)
	v_add_f64_e32 v[12:13], v[12:13], v[154:155]
	v_add_f64_e32 v[14:15], v[14:15], v[152:153]
	s_delay_alu instid0(VALU_DEP_4) | instskip(NEXT) | instid1(VALU_DEP_4)
	v_fma_f64 v[176:177], v[251:252], s[22:23], -v[164:165]
	v_fma_f64 v[178:179], v[251:252], s[38:39], -v[166:167]
	v_fma_f64 v[166:167], v[251:252], s[38:39], v[166:167]
	v_fma_f64 v[164:165], v[251:252], s[22:23], v[164:165]
	v_add_f64_e32 v[12:13], v[12:13], v[150:151]
	v_add_f64_e32 v[14:15], v[14:15], v[148:149]
	s_delay_alu instid0(VALU_DEP_2) | instskip(NEXT) | instid1(VALU_DEP_2)
	v_add_f64_e32 v[12:13], v[12:13], v[146:147]
	v_add_f64_e32 v[14:15], v[14:15], v[144:145]
	s_delay_alu instid0(VALU_DEP_2) | instskip(NEXT) | instid1(VALU_DEP_2)
	v_add_f64_e32 v[12:13], v[12:13], v[130:131]
	v_add_f64_e32 v[14:15], v[14:15], v[128:129]
	v_mul_f64_e32 v[128:129], s[50:51], v[253:254]
	v_mul_f64_e32 v[130:131], s[56:57], v[253:254]
	s_delay_alu instid0(VALU_DEP_4) | instskip(NEXT) | instid1(VALU_DEP_4)
	v_add_f64_e32 v[12:13], v[12:13], v[126:127]
	v_add_f64_e32 v[14:15], v[14:15], v[124:125]
	v_mul_f64_e32 v[124:125], s[40:41], v[253:254]
	v_mul_f64_e32 v[126:127], s[46:47], v[253:254]
	v_fma_f64 v[152:153], v[245:246], s[22:23], v[128:129]
	v_fma_f64 v[154:155], v[245:246], s[38:39], v[130:131]
	v_fma_f64 v[130:131], v[245:246], s[38:39], -v[130:131]
	v_fma_f64 v[128:129], v[245:246], s[22:23], -v[128:129]
	v_add_f64_e32 v[10:11], v[12:13], v[10:11]
	v_add_f64_e32 v[8:9], v[14:15], v[8:9]
	v_mul_f64_e32 v[14:15], s[48:49], v[253:254]
	v_fma_f64 v[148:149], v[245:246], s[34:35], v[124:125]
	v_fma_f64 v[150:151], v[245:246], s[26:27], v[126:127]
	v_mul_f64_e32 v[12:13], s[16:17], v[253:254]
	v_fma_f64 v[124:125], v[245:246], s[34:35], -v[124:125]
	v_fma_f64 v[126:127], v[245:246], s[26:27], -v[126:127]
	v_add_f64_e32 v[6:7], v[10:11], v[6:7]
	v_add_f64_e32 v[4:5], v[8:9], v[4:5]
	s_clause 0x1
	scratch_load_b64 v[8:9], off, off offset:324 th:TH_LOAD_LU
	scratch_load_b64 v[10:11], off, off offset:316 th:TH_LOAD_LU
	v_fma_f64 v[146:147], v[245:246], s[28:29], v[14:15]
	v_fma_f64 v[14:15], v[245:246], s[28:29], -v[14:15]
	v_fma_f64 v[144:145], v[245:246], s[10:11], v[12:13]
	v_fma_f64 v[12:13], v[245:246], s[10:11], -v[12:13]
	v_add_f64_e32 v[6:7], v[6:7], v[18:19]
	v_add_f64_e32 v[4:5], v[4:5], v[16:17]
	v_mul_f64_e32 v[18:19], s[52:53], v[28:29]
	v_add_f64_e32 v[16:17], v[134:135], v[146:147]
	v_add_f64_e32 v[146:147], v[134:135], v[124:125]
	;; [unrolled: 1-line block ×6, first 2 shown]
	scratch_store_b128 off, v[4:7], off offset:356 ; 16-byte Folded Spill
	scratch_load_b64 v[6:7], off, off offset:340 th:TH_LOAD_LU ; 8-byte Folded Reload
	v_mul_f64_e32 v[4:5], s[30:31], v[253:254]
	scratch_store_b64 off, v[16:17], off offset:532 ; 8-byte Folded Spill
	v_add_f64_e32 v[16:17], v[132:133], v[170:171]
	v_add_f64_e32 v[170:171], v[134:135], v[14:15]
	;; [unrolled: 1-line block ×4, first 2 shown]
	s_wait_loadcnt 0x0
	v_add_f64_e64 v[4:5], v[6:7], -v[4:5]
	v_mul_f64_e32 v[6:7], s[18:19], v[251:252]
	s_delay_alu instid0(VALU_DEP_2) | instskip(SKIP_1) | instid1(VALU_DEP_3)
	v_add_f64_e32 v[160:161], v[134:135], v[4:5]
	v_add_f64_e32 v[4:5], v[134:135], v[150:151]
	;; [unrolled: 1-line block ×3, first 2 shown]
	v_mul_f64_e32 v[8:9], s[14:15], v[253:254]
	scratch_store_b64 off, v[4:5], off offset:500 ; 8-byte Folded Spill
	v_add_f64_e32 v[4:5], v[132:133], v[174:175]
	v_add_f64_e64 v[8:9], v[10:11], -v[8:9]
	v_mul_f64_e32 v[10:11], s[2:3], v[251:252]
	v_add_f64_e32 v[186:187], v[132:133], v[6:7]
	v_mul_f64_e32 v[174:175], s[48:49], v[20:21]
	scratch_store_b64 off, v[4:5], off offset:492 ; 8-byte Folded Spill
	v_add_f64_e32 v[4:5], v[134:135], v[152:153]
	scratch_store_b64 off, v[14:15], off offset:516 ; 8-byte Folded Spill
	v_add_f64_e32 v[14:15], v[132:133], v[172:173]
	v_add_f64_e32 v[245:246], v[134:135], v[8:9]
	v_mul_f64_e32 v[8:9], s[24:25], v[22:23]
	v_add_f64_e32 v[10:11], v[10:11], v[90:91]
	v_mul_f64_e32 v[172:173], s[48:49], v[38:39]
	scratch_store_b64 off, v[4:5], off offset:396 ; 8-byte Folded Spill
	v_add_f64_e32 v[4:5], v[132:133], v[176:177]
	scratch_store_b64 off, v[14:15], off offset:508 ; 8-byte Folded Spill
	v_add_f64_e32 v[14:15], v[134:135], v[128:129]
	v_add_f64_e32 v[128:129], v[132:133], v[164:165]
	;; [unrolled: 1-line block ×3, first 2 shown]
	v_mul_f64_e32 v[10:11], s[24:25], v[0:1]
	v_dual_mov_b32 v164, v217 :: v_dual_mov_b32 v165, v218
	scratch_store_b64 off, v[4:5], off offset:388 ; 8-byte Folded Spill
	v_add_f64_e32 v[4:5], v[134:135], v[154:155]
	v_fma_f64 v[6:7], v[221:222], s[22:23], -v[10:11]
	v_fma_f64 v[10:11], v[221:222], s[22:23], v[10:11]
	scratch_store_b64 off, v[4:5], off offset:412 ; 8-byte Folded Spill
	v_add_f64_e32 v[4:5], v[132:133], v[178:179]
	scratch_store_b64 off, v[16:17], off offset:524 ; 8-byte Folded Spill
	v_mul_f64_e32 v[16:17], s[52:53], v[84:85]
	v_add_f64_e32 v[6:7], v[6:7], v[168:169]
	v_add_f64_e32 v[10:11], v[10:11], v[156:157]
	v_mul_f64_e32 v[156:157], s[28:29], v[215:216]
	scratch_store_b64 off, v[4:5], off offset:404 ; 8-byte Folded Spill
	v_add_f64_e32 v[4:5], v[134:135], v[130:131]
	v_mul_f64_e32 v[130:131], s[48:49], v[30:31]
	v_add_f64_e32 v[156:157], v[156:157], v[223:224]
	scratch_store_b64 off, v[4:5], off offset:428 ; 8-byte Folded Spill
	v_add_f64_e32 v[4:5], v[132:133], v[166:167]
	v_fma_f64 v[132:133], v[59:60], s[28:29], v[130:131]
	v_dual_mov_b32 v167, v23 :: v_dual_mov_b32 v166, v22
	scratch_store_b64 off, v[4:5], off offset:420 ; 8-byte Folded Spill
	v_fma_f64 v[4:5], v[57:58], s[22:23], v[8:9]
	v_fma_f64 v[8:9], v[57:58], s[22:23], -v[8:9]
	s_delay_alu instid0(VALU_DEP_2) | instskip(NEXT) | instid1(VALU_DEP_2)
	v_add_f64_e32 v[4:5], v[4:5], v[144:145]
	v_add_f64_e32 v[8:9], v[8:9], v[12:13]
	v_fma_f64 v[12:13], v[59:60], s[28:29], -v[130:131]
	v_dual_mov_b32 v131, v107 :: v_dual_mov_b32 v130, v106
	v_dual_mov_b32 v106, v237 :: v_dual_mov_b32 v107, v238
	;; [unrolled: 1-line block ×3, first 2 shown]
	v_add_f64_e32 v[4:5], v[132:133], v[4:5]
	v_mul_f64_e32 v[132:133], s[48:49], v[2:3]
	v_add_f64_e32 v[8:9], v[12:13], v[8:9]
	s_delay_alu instid0(VALU_DEP_2) | instskip(SKIP_4) | instid1(VALU_DEP_1)
	v_fma_f64 v[134:135], v[192:193], s[28:29], -v[132:133]
	v_fma_f64 v[12:13], v[192:193], s[28:29], v[132:133]
	v_dual_mov_b32 v133, v105 :: v_dual_mov_b32 v132, v104
	v_dual_mov_b32 v104, v233 :: v_dual_mov_b32 v105, v234
	;; [unrolled: 1-line block ×3, first 2 shown]
	v_mul_f64_e32 v[217:218], s[20:21], v[233:234]
	v_add_f64_e32 v[6:7], v[134:135], v[6:7]
	v_mul_f64_e32 v[134:135], s[44:45], v[34:35]
	v_add_f64_e32 v[10:11], v[12:13], v[10:11]
	s_delay_alu instid0(VALU_DEP_2) | instskip(SKIP_2) | instid1(VALU_DEP_3)
	v_fma_f64 v[144:145], v[61:62], s[38:39], v[134:135]
	v_fma_f64 v[12:13], v[61:62], s[38:39], -v[134:135]
	v_mul_f64_e32 v[134:135], s[22:23], v[199:200]
	v_add_f64_e32 v[4:5], v[144:145], v[4:5]
	v_mul_f64_e32 v[144:145], s[44:45], v[26:27]
	s_delay_alu instid0(VALU_DEP_4) | instskip(NEXT) | instid1(VALU_DEP_4)
	v_add_f64_e32 v[8:9], v[12:13], v[8:9]
	v_add_f64_e32 v[134:135], v[134:135], v[197:198]
	v_dual_mov_b32 v198, v58 :: v_dual_mov_b32 v197, v57
	s_delay_alu instid0(VALU_DEP_4) | instskip(SKIP_2) | instid1(VALU_DEP_3)
	v_fma_f64 v[150:151], v[199:200], s[38:39], -v[144:145]
	v_fma_f64 v[12:13], v[199:200], s[38:39], v[144:145]
	v_mul_f64_e32 v[144:145], s[18:19], v[192:193]
	v_add_f64_e32 v[6:7], v[150:151], v[6:7]
	v_mul_f64_e32 v[150:151], s[40:41], v[40:41]
	s_delay_alu instid0(VALU_DEP_4) | instskip(NEXT) | instid1(VALU_DEP_4)
	v_add_f64_e32 v[10:11], v[12:13], v[10:11]
	v_add_f64_e32 v[144:145], v[144:145], v[188:189]
	v_dual_mov_b32 v189, v25 :: v_dual_mov_b32 v188, v24
	s_delay_alu instid0(VALU_DEP_4) | instskip(SKIP_2) | instid1(VALU_DEP_3)
	v_fma_f64 v[152:153], v[24:25], s[34:35], v[150:151]
	v_fma_f64 v[12:13], v[24:25], s[34:35], -v[150:151]
	v_mul_f64_e32 v[150:151], s[46:47], v[237:238]
	v_add_f64_e32 v[4:5], v[152:153], v[4:5]
	v_mul_f64_e32 v[152:153], s[40:41], v[32:33]
	s_delay_alu instid0(VALU_DEP_4) | instskip(NEXT) | instid1(VALU_DEP_4)
	v_add_f64_e32 v[8:9], v[12:13], v[8:9]
	v_add_f64_e64 v[150:151], v[213:214], -v[150:151]
	s_delay_alu instid0(VALU_DEP_3) | instskip(SKIP_2) | instid1(VALU_DEP_3)
	v_fma_f64 v[154:155], v[207:208], s[34:35], -v[152:153]
	v_fma_f64 v[12:13], v[207:208], s[34:35], v[152:153]
	v_mul_f64_e32 v[152:153], s[26:27], v[207:208]
	v_add_f64_e32 v[6:7], v[154:155], v[6:7]
	v_mul_f64_e32 v[154:155], s[54:55], v[42:43]
	s_delay_alu instid0(VALU_DEP_4) | instskip(NEXT) | instid1(VALU_DEP_4)
	v_add_f64_e32 v[10:11], v[12:13], v[10:11]
	v_add_f64_e32 v[152:153], v[152:153], v[205:206]
	v_dual_mov_b32 v206, v60 :: v_dual_mov_b32 v205, v59
	s_delay_alu instid0(VALU_DEP_4) | instskip(SKIP_1) | instid1(VALU_DEP_2)
	v_fma_f64 v[162:163], v[94:95], s[26:27], v[154:155]
	v_fma_f64 v[12:13], v[94:95], s[26:27], -v[154:155]
	v_add_f64_e32 v[4:5], v[162:163], v[4:5]
	v_mul_f64_e32 v[162:163], s[54:55], v[36:37]
	s_delay_alu instid0(VALU_DEP_3) | instskip(NEXT) | instid1(VALU_DEP_2)
	v_add_f64_e32 v[8:9], v[12:13], v[8:9]
	v_fma_f64 v[168:169], v[215:216], s[26:27], -v[162:163]
	v_fma_f64 v[12:13], v[215:216], s[26:27], v[162:163]
	v_mul_f64_e32 v[162:163], s[40:41], v[166:167]
	s_delay_alu instid0(VALU_DEP_3) | instskip(SKIP_1) | instid1(VALU_DEP_4)
	v_add_f64_e32 v[6:7], v[168:169], v[6:7]
	v_mul_f64_e32 v[168:169], s[30:31], v[20:21]
	v_add_f64_e32 v[10:11], v[12:13], v[10:11]
	s_delay_alu instid0(VALU_DEP_2) | instskip(SKIP_2) | instid1(VALU_DEP_3)
	v_fma_f64 v[252:253], v[86:87], s[18:19], v[168:169]
	v_fma_f64 v[12:13], v[86:87], s[18:19], -v[168:169]
	v_mul_f64_e32 v[168:169], s[40:41], v[0:1]
	v_add_f64_e32 v[4:5], v[252:253], v[4:5]
	v_mul_f64_e32 v[252:253], s[30:31], v[38:39]
	s_delay_alu instid0(VALU_DEP_4) | instskip(NEXT) | instid1(VALU_DEP_2)
	v_add_f64_e32 v[8:9], v[12:13], v[8:9]
	v_fma_f64 v[178:179], v[92:93], s[18:19], -v[252:253]
	v_fma_f64 v[12:13], v[92:93], s[18:19], v[252:253]
	v_mul_f64_e32 v[253:254], s[30:31], v[32:33]
	v_mul_f64_e32 v[251:252], s[40:41], v[42:43]
	s_delay_alu instid0(VALU_DEP_4) | instskip(SKIP_4) | instid1(VALU_DEP_4)
	v_add_f64_e32 v[178:179], v[178:179], v[6:7]
	v_fma_f64 v[6:7], v[229:230], s[2:3], v[16:17]
	v_add_f64_e32 v[12:13], v[12:13], v[10:11]
	v_fma_f64 v[10:11], v[229:230], s[2:3], -v[16:17]
	v_fma_f64 v[16:17], v[227:228], s[2:3], v[18:19]
	v_add_f64_e32 v[6:7], v[6:7], v[4:5]
	v_fma_f64 v[4:5], v[227:228], s[2:3], -v[18:19]
	v_dual_mov_b32 v18, v32 :: v_dual_mov_b32 v19, v33
	s_delay_alu instid0(VALU_DEP_4)
	v_add_f64_e32 v[180:181], v[16:17], v[12:13]
	v_dual_mov_b32 v16, v26 :: v_dual_mov_b32 v17, v27
	v_dual_mov_b32 v33, v31 :: v_dual_mov_b32 v32, v30
	v_add_f64_e32 v[182:183], v[10:11], v[8:9]
	v_dual_mov_b32 v10, v209 :: v_dual_mov_b32 v11, v210
	v_dual_mov_b32 v8, v201 :: v_dual_mov_b32 v9, v202
	s_delay_alu instid0(VALU_DEP_4)
	v_mul_f64_e32 v[209:210], s[58:59], v[32:33]
	v_dual_mov_b32 v202, v39 :: v_dual_mov_b32 v201, v38
	v_add_f64_e32 v[4:5], v[4:5], v[178:179]
	scratch_store_b128 off, v[4:7], off offset:372 ; 16-byte Folded Spill
	v_mul_f64_e32 v[4:5], s[56:57], v[22:23]
	v_dual_mov_b32 v6, v194 :: v_dual_mov_b32 v7, v195
	v_dual_mov_b32 v195, v37 :: v_dual_mov_b32 v194, v36
	s_delay_alu instid0(VALU_DEP_1) | instskip(SKIP_4) | instid1(VALU_DEP_3)
	v_mul_f64_e32 v[36:37], s[50:51], v[194:195]
	scratch_store_b64 off, v[4:5], off offset:436 ; 8-byte Folded Spill
	v_fma_f64 v[12:13], v[57:58], s[38:39], -v[4:5]
	v_mul_f64_e32 v[4:5], s[56:57], v[0:1]
	v_fma_f64 v[38:39], v[215:216], s[22:23], v[36:37]
	v_add_f64_e32 v[12:13], v[12:13], v[14:15]
	scratch_store_b64 off, v[4:5], off offset:444 ; 8-byte Folded Spill
	v_fma_f64 v[14:15], v[221:222], s[38:39], v[4:5]
	v_mul_f64_e32 v[4:5], s[46:47], v[30:31]
	v_fma_f64 v[30:31], v[94:95], s[34:35], -v[251:252]
	s_delay_alu instid0(VALU_DEP_3) | instskip(SKIP_3) | instid1(VALU_DEP_2)
	v_add_f64_e32 v[14:15], v[14:15], v[128:129]
	scratch_store_b64 off, v[4:5], off offset:452 ; 8-byte Folded Spill
	v_fma_f64 v[128:129], v[59:60], s[26:27], -v[4:5]
	v_mul_f64_e32 v[4:5], s[46:47], v[2:3]
	v_add_f64_e32 v[12:13], v[128:129], v[12:13]
	scratch_store_b64 off, v[4:5], off offset:460 ; 8-byte Folded Spill
	v_fma_f64 v[128:129], v[192:193], s[26:27], v[4:5]
	v_mul_f64_e32 v[4:5], s[14:15], v[34:35]
	v_fma_f64 v[34:35], v[86:87], s[28:29], -v[174:175]
	s_delay_alu instid0(VALU_DEP_3) | instskip(SKIP_3) | instid1(VALU_DEP_2)
	v_add_f64_e32 v[14:15], v[128:129], v[14:15]
	scratch_store_b64 off, v[4:5], off offset:468 ; 8-byte Folded Spill
	v_fma_f64 v[22:23], v[61:62], s[2:3], -v[4:5]
	v_mul_f64_e32 v[4:5], s[14:15], v[26:27]
	v_add_f64_e32 v[12:13], v[22:23], v[12:13]
	scratch_store_b64 off, v[4:5], off offset:476 ; 8-byte Folded Spill
	v_fma_f64 v[128:129], v[199:200], s[2:3], v[4:5]
	v_mul_f64_e32 v[4:5], s[30:31], v[40:41]
	v_mul_f64_e32 v[22:23], s[44:45], v[18:19]
	s_delay_alu instid0(VALU_DEP_3) | instskip(NEXT) | instid1(VALU_DEP_3)
	v_add_f64_e32 v[14:15], v[128:129], v[14:15]
	v_fma_f64 v[26:27], v[24:25], s[18:19], -v[4:5]
	v_fma_f64 v[128:129], v[207:208], s[18:19], v[253:254]
	s_clause 0x3
	scratch_store_b64 off, v[4:5], off offset:484
	scratch_store_b32 off, v88, off offset:340
	scratch_store_b32 off, v89, off offset:316
	scratch_store_b128 off, v[140:143], off offset:324
	v_dual_mov_b32 v91, v48 :: v_dual_mov_b32 v90, v47
	v_dual_mov_b32 v89, v46 :: v_dual_mov_b32 v88, v45
	v_mul_f64_e32 v[44:45], s[14:15], v[201:202]
	v_dual_mov_b32 v4, v190 :: v_dual_mov_b32 v5, v191
	v_dual_mov_b32 v191, v29 :: v_dual_mov_b32 v190, v28
	;; [unrolled: 1-line block ×6, first 2 shown]
	v_mul_f64_e32 v[76:77], s[44:45], v[20:21]
	v_add_f64_e32 v[12:13], v[26:27], v[12:13]
	v_add_f64_e32 v[14:15], v[128:129], v[14:15]
	v_fma_f64 v[128:129], v[215:216], s[34:35], v[184:185]
	v_mul_f64_e32 v[26:27], s[44:45], v[40:41]
	v_mul_f64_e32 v[40:41], s[14:15], v[20:21]
	v_fma_f64 v[46:47], v[92:93], s[2:3], v[44:45]
	v_fma_f64 v[78:79], v[86:87], s[38:39], -v[76:77]
	v_add_f64_e32 v[12:13], v[30:31], v[12:13]
	v_mul_f64_e32 v[30:31], s[16:17], v[28:29]
	v_add_f64_e32 v[14:15], v[128:129], v[14:15]
	v_fma_f64 v[128:129], v[92:93], s[28:29], v[172:173]
	v_dual_mov_b32 v28, v42 :: v_dual_mov_b32 v29, v43
	s_delay_alu instid0(VALU_DEP_1) | instskip(SKIP_3) | instid1(VALU_DEP_4)
	v_mul_f64_e32 v[154:155], s[48:49], v[28:29]
	v_add_f64_e32 v[12:13], v[34:35], v[12:13]
	v_mul_f64_e32 v[34:35], s[16:17], v[84:85]
	v_add_f64_e32 v[128:129], v[128:129], v[14:15]
	v_add_f64_e64 v[154:155], v[243:244], -v[154:155]
	s_delay_alu instid0(VALU_DEP_3) | instskip(NEXT) | instid1(VALU_DEP_1)
	v_fma_f64 v[14:15], v[229:230], s[10:11], -v[34:35]
	v_add_f64_e32 v[178:179], v[14:15], v[12:13]
	v_fma_f64 v[12:13], v[227:228], s[10:11], v[30:31]
	v_dual_mov_b32 v14, v231 :: v_dual_mov_b32 v15, v232
	v_mul_f64_e32 v[231:232], s[20:21], v[16:17]
	s_delay_alu instid0(VALU_DEP_3) | instskip(SKIP_4) | instid1(VALU_DEP_4)
	v_add_f64_e32 v[176:177], v[12:13], v[128:129]
	v_fma_f64 v[128:129], v[57:58], s[34:35], -v[162:163]
	v_dual_mov_b32 v13, v1 :: v_dual_mov_b32 v12, v0
	v_mul_f64_e32 v[0:1], s[50:51], v[42:43]
	v_fma_f64 v[42:43], v[86:87], s[2:3], -v[40:41]
	v_add_f64_e32 v[124:125], v[128:129], v[124:125]
	v_fma_f64 v[128:129], v[221:222], s[34:35], v[168:169]
	s_delay_alu instid0(VALU_DEP_1) | instskip(SKIP_1) | instid1(VALU_DEP_1)
	v_add_f64_e32 v[126:127], v[128:129], v[126:127]
	v_fma_f64 v[128:129], v[59:60], s[10:11], -v[209:210]
	v_add_f64_e32 v[124:125], v[128:129], v[124:125]
	v_fma_f64 v[128:129], v[192:193], s[10:11], v[249:250]
	s_delay_alu instid0(VALU_DEP_1) | instskip(SKIP_1) | instid1(VALU_DEP_1)
	v_add_f64_e32 v[126:127], v[128:129], v[126:127]
	;; [unrolled: 5-line block ×3, first 2 shown]
	v_fma_f64 v[128:129], v[24:25], s[38:39], -v[26:27]
	v_add_f64_e32 v[124:125], v[128:129], v[124:125]
	v_fma_f64 v[128:129], v[207:208], s[38:39], v[22:23]
	s_delay_alu instid0(VALU_DEP_1) | instskip(SKIP_2) | instid1(VALU_DEP_3)
	v_add_f64_e32 v[126:127], v[128:129], v[126:127]
	v_fma_f64 v[128:129], v[94:95], s[22:23], -v[0:1]
	v_fma_f64 v[0:1], v[94:95], s[22:23], v[0:1]
	v_add_f64_e32 v[38:39], v[38:39], v[126:127]
	s_delay_alu instid0(VALU_DEP_3) | instskip(SKIP_1) | instid1(VALU_DEP_3)
	v_add_f64_e32 v[124:125], v[128:129], v[124:125]
	v_mul_f64_e32 v[128:129], s[16:17], v[166:167]
	v_add_f64_e32 v[38:39], v[46:47], v[38:39]
	v_mul_f64_e32 v[46:47], s[48:49], v[84:85]
	s_delay_alu instid0(VALU_DEP_4) | instskip(NEXT) | instid1(VALU_DEP_4)
	v_add_f64_e32 v[42:43], v[42:43], v[124:125]
	v_add_f64_e64 v[128:129], v[130:131], -v[128:129]
	v_mul_f64_e32 v[130:131], s[10:11], v[221:222]
	s_delay_alu instid0(VALU_DEP_4) | instskip(NEXT) | instid1(VALU_DEP_3)
	v_fma_f64 v[124:125], v[229:230], s[28:29], -v[46:47]
	v_add_f64_e32 v[128:129], v[128:129], v[245:246]
	s_delay_alu instid0(VALU_DEP_3)
	v_add_f64_e32 v[130:131], v[130:131], v[132:133]
	v_mul_f64_e32 v[132:133], s[24:25], v[233:234]
	v_mul_f64_e32 v[245:246], s[38:39], v[192:193]
	v_add_f64_e32 v[126:127], v[124:125], v[42:43]
	v_mul_f64_e32 v[42:43], s[48:49], v[190:191]
	v_add_f64_e32 v[130:131], v[130:131], v[247:248]
	v_add_f64_e64 v[132:133], v[211:212], -v[132:133]
	v_add_f64_e32 v[245:246], v[245:246], v[4:5]
	v_mul_f64_e32 v[247:248], s[48:49], v[16:17]
	v_dual_mov_b32 v214, v139 :: v_dual_mov_b32 v213, v138
	v_dual_mov_b32 v212, v137 :: v_dual_mov_b32 v211, v136
	;; [unrolled: 1-line block ×6, first 2 shown]
	v_mul_f64_e32 v[80:81], s[30:31], v[84:85]
	scratch_load_b64 v[4:5], off, off offset:292 th:TH_LOAD_LU ; 8-byte Folded Reload
	v_fma_f64 v[124:125], v[227:228], s[28:29], v[42:43]
	v_fma_f64 v[82:83], v[229:230], s[18:19], -v[80:81]
	s_delay_alu instid0(VALU_DEP_2) | instskip(SKIP_1) | instid1(VALU_DEP_1)
	v_add_f64_e32 v[124:125], v[124:125], v[38:39]
	v_mul_f64_e32 v[38:39], s[20:21], v[32:33]
	v_add_f64_e64 v[38:39], v[203:204], -v[38:39]
	v_mul_f64_e32 v[203:204], s[16:17], v[20:21]
	s_delay_alu instid0(VALU_DEP_2) | instskip(SKIP_3) | instid1(VALU_DEP_4)
	v_add_f64_e32 v[38:39], v[38:39], v[128:129]
	v_add_f64_e32 v[128:129], v[144:145], v[130:131]
	v_mul_f64_e32 v[144:145], s[38:39], v[227:228]
	v_mul_f64_e32 v[130:131], s[42:43], v[20:21]
	v_add_f64_e32 v[38:39], v[132:133], v[38:39]
	s_delay_alu instid0(VALU_DEP_4) | instskip(NEXT) | instid1(VALU_DEP_4)
	v_add_f64_e32 v[128:129], v[134:135], v[128:129]
	v_add_f64_e32 v[144:145], v[144:145], v[6:7]
	scratch_load_b64 v[6:7], off, off offset:308 th:TH_LOAD_LU ; 8-byte Folded Reload
	v_add_f64_e64 v[130:131], v[8:9], -v[130:131]
	v_mul_f64_e32 v[134:135], s[44:45], v[84:85]
	v_mul_f64_e32 v[132:133], s[34:35], v[92:93]
	v_add_f64_e32 v[38:39], v[150:151], v[38:39]
	v_add_f64_e32 v[128:129], v[152:153], v[128:129]
	v_mul_f64_e32 v[150:151], s[52:53], v[28:29]
	v_mul_f64_e32 v[152:153], s[16:17], v[237:238]
	v_add_f64_e64 v[134:135], v[219:220], -v[134:135]
	v_add_f64_e32 v[132:133], v[132:133], v[225:226]
	v_dual_mov_b32 v226, v52 :: v_dual_mov_b32 v225, v51
	v_dual_mov_b32 v224, v50 :: v_dual_mov_b32 v223, v49
	v_mul_f64_e32 v[48:49], s[52:53], v[237:238]
	v_add_f64_e32 v[38:39], v[154:155], v[38:39]
	v_add_f64_e32 v[128:129], v[156:157], v[128:129]
	v_mul_f64_e32 v[156:157], s[28:29], v[221:222]
	v_mul_f64_e32 v[154:155], s[26:27], v[199:200]
	v_fma_f64 v[50:51], v[24:25], s[2:3], -v[48:49]
	v_dual_mov_b32 v24, v61 :: v_dual_mov_b32 v25, v62
	v_fma_f64 v[48:49], v[188:189], s[2:3], v[48:49]
	v_add_f64_e32 v[38:39], v[130:131], v[38:39]
	v_add_f64_e32 v[128:129], v[132:133], v[128:129]
	v_mul_f64_e32 v[132:133], s[44:45], v[32:33]
	v_add_f64_e32 v[156:157], v[156:157], v[241:242]
	v_add_f64_e32 v[154:155], v[154:155], v[164:165]
	v_dual_mov_b32 v165, v3 :: v_dual_mov_b32 v164, v2
	v_dual_mov_b32 v244, v111 :: v_dual_mov_b32 v243, v110
	v_dual_mov_b32 v242, v109 :: v_dual_mov_b32 v241, v108
	v_dual_mov_b32 v111, v71 :: v_dual_mov_b32 v110, v70
	v_dual_mov_b32 v109, v69 :: v_dual_mov_b32 v108, v68
	v_mul_f64_e32 v[68:69], s[50:51], v[237:238]
	v_add_f64_e32 v[130:131], v[134:135], v[38:39]
	v_mul_f64_e32 v[134:135], s[50:51], v[20:21]
	v_add_f64_e32 v[128:129], v[144:145], v[128:129]
	v_mul_f64_e32 v[144:145], s[46:47], v[233:234]
	v_mul_f64_e32 v[38:39], s[36:37], v[166:167]
	v_add_f64_e64 v[132:133], v[239:240], -v[132:133]
	v_add_f64_e32 v[156:157], v[156:157], v[186:187]
	v_mul_f64_e32 v[186:187], s[50:51], v[2:3]
	v_mul_f64_e32 v[2:3], s[16:17], v[201:202]
	v_fma_f64 v[70:71], v[188:189], s[22:23], -v[68:69]
	v_add_f64_e64 v[38:39], v[104:105], -v[38:39]
	s_delay_alu instid0(VALU_DEP_1) | instskip(SKIP_1) | instid1(VALU_DEP_2)
	v_add_f64_e32 v[38:39], v[38:39], v[160:161]
	v_mul_f64_e32 v[160:161], s[10:11], v[207:208]
	v_add_f64_e32 v[38:39], v[132:133], v[38:39]
	v_add_f64_e32 v[132:133], v[245:246], v[156:157]
	v_mul_f64_e32 v[156:157], s[2:3], v[215:216]
	s_delay_alu instid0(VALU_DEP_4)
	v_add_f64_e32 v[160:161], v[160:161], v[10:11]
	v_mul_f64_e32 v[245:246], s[48:49], v[233:234]
	v_dual_mov_b32 v8, v112 :: v_dual_mov_b32 v9, v113
	v_dual_mov_b32 v10, v114 :: v_dual_mov_b32 v11, v115
	;; [unrolled: 1-line block ×6, first 2 shown]
	v_mul_f64_e32 v[52:53], s[52:53], v[18:19]
	v_add_f64_e32 v[132:133], v[154:155], v[132:133]
	v_add_f64_e32 v[156:157], v[156:157], v[14:15]
	v_mul_f64_e32 v[154:155], s[14:15], v[32:33]
	scratch_load_b64 v[14:15], off, off offset:532 th:TH_LOAD_LU ; 8-byte Folded Reload
	s_wait_loadcnt 0x1
	v_add_f64_e64 v[134:135], v[6:7], -v[134:135]
	scratch_load_b64 v[6:7], off, off offset:12 th:TH_LOAD_LU ; 8-byte Folded Reload
	v_fma_f64 v[54:55], v[207:208], s[2:3], v[52:53]
	v_add_f64_e32 v[132:133], v[160:161], v[132:133]
	v_mul_f64_e32 v[160:161], s[50:51], v[32:33]
	s_delay_alu instid0(VALU_DEP_2)
	v_add_f64_e32 v[132:133], v[156:157], v[132:133]
	v_mul_f64_e32 v[156:157], s[20:21], v[12:13]
	s_wait_loadcnt 0x0
	v_add_f64_e64 v[144:145], v[6:7], -v[144:145]
	scratch_load_b64 v[6:7], off, off offset:300 th:TH_LOAD_LU ; 8-byte Folded Reload
	v_add_f64_e32 v[38:39], v[144:145], v[38:39]
	v_mul_f64_e32 v[144:145], s[22:23], v[92:93]
	s_delay_alu instid0(VALU_DEP_1) | instskip(NEXT) | instid1(VALU_DEP_1)
	v_add_f64_e32 v[144:145], v[144:145], v[235:236]
	v_add_f64_e32 v[132:133], v[144:145], v[132:133]
	s_wait_loadcnt 0x0
	v_add_f64_e64 v[150:151], v[6:7], -v[150:151]
	scratch_load_b64 v[6:7], off, off offset:284 th:TH_LOAD_LU ; 8-byte Folded Reload
	s_wait_loadcnt 0x0
	v_add_f64_e64 v[152:153], v[6:7], -v[152:153]
	s_delay_alu instid0(VALU_DEP_1) | instskip(SKIP_1) | instid1(VALU_DEP_2)
	v_add_f64_e32 v[38:39], v[152:153], v[38:39]
	v_mul_f64_e32 v[152:153], s[40:41], v[84:85]
	v_add_f64_e32 v[38:39], v[150:151], v[38:39]
	s_delay_alu instid0(VALU_DEP_2)
	v_add_f64_e64 v[152:153], v[4:5], -v[152:153]
	v_mul_f64_e32 v[150:151], s[34:35], v[227:228]
	v_dual_mov_b32 v4, v100 :: v_dual_mov_b32 v5, v101
	v_dual_mov_b32 v6, v102 :: v_dual_mov_b32 v7, v103
	;; [unrolled: 1-line block ×3, first 2 shown]
	v_mul_f64_e32 v[64:65], s[42:43], v[16:17]
	v_dual_mov_b32 v102, v66 :: v_dual_mov_b32 v103, v67
	v_add_f64_e32 v[38:39], v[134:135], v[38:39]
	v_add_f64_e32 v[150:151], v[150:151], v[106:107]
	v_dual_mov_b32 v107, v75 :: v_dual_mov_b32 v106, v74
	v_dual_mov_b32 v105, v73 :: v_dual_mov_b32 v104, v72
	v_mul_f64_e32 v[72:73], s[16:17], v[28:29]
	v_fma_f64 v[66:67], v[199:200], s[34:35], v[64:65]
	v_fma_f64 v[64:65], v[199:200], s[34:35], -v[64:65]
	v_add_f64_e32 v[134:135], v[152:153], v[38:39]
	v_mul_f64_e32 v[38:39], s[20:21], v[166:167]
	v_mul_f64_e32 v[152:153], s[54:55], v[12:13]
	v_add_f64_e32 v[132:133], v[150:151], v[132:133]
	v_fma_f64 v[150:151], v[205:206], s[2:3], -v[154:155]
	v_fma_f64 v[74:75], v[94:95], s[10:11], -v[72:73]
	;; [unrolled: 1-line block ×3, first 2 shown]
	v_mul_f64_e32 v[56:57], s[56:57], v[28:29]
	v_fma_f64 v[38:39], v[197:198], s[18:19], v[38:39]
	s_delay_alu instid0(VALU_DEP_3) | instskip(SKIP_1) | instid1(VALU_DEP_1)
	v_add_f64_e32 v[144:145], v[144:145], v[146:147]
	v_fma_f64 v[146:147], v[221:222], s[18:19], v[156:157]
	v_add_f64_e32 v[146:147], v[146:147], v[148:149]
	v_fma_f64 v[148:149], v[59:60], s[22:23], -v[160:161]
	v_fma_f64 v[58:59], v[94:95], s[38:39], -v[56:57]
	s_delay_alu instid0(VALU_DEP_2) | instskip(SKIP_1) | instid1(VALU_DEP_1)
	v_add_f64_e32 v[144:145], v[148:149], v[144:145]
	v_fma_f64 v[148:149], v[192:193], s[22:23], v[186:187]
	v_add_f64_e32 v[146:147], v[148:149], v[146:147]
	v_fma_f64 v[148:149], v[61:62], s[28:29], -v[245:246]
	v_mul_f64_e32 v[60:61], s[54:55], v[84:85]
	s_delay_alu instid0(VALU_DEP_2) | instskip(SKIP_1) | instid1(VALU_DEP_3)
	v_add_f64_e32 v[144:145], v[148:149], v[144:145]
	v_fma_f64 v[148:149], v[199:200], s[28:29], v[247:248]
	v_fma_f64 v[62:63], v[229:230], s[26:27], -v[60:61]
	s_delay_alu instid0(VALU_DEP_3) | instskip(NEXT) | instid1(VALU_DEP_3)
	v_add_f64_e32 v[50:51], v[50:51], v[144:145]
	v_add_f64_e32 v[146:147], v[148:149], v[146:147]
	v_fma_f64 v[148:149], v[221:222], s[26:27], v[152:153]
	s_delay_alu instid0(VALU_DEP_3) | instskip(SKIP_1) | instid1(VALU_DEP_4)
	v_add_f64_e32 v[50:51], v[58:59], v[50:51]
	v_mul_f64_e32 v[58:59], s[56:57], v[194:195]
	v_add_f64_e32 v[54:55], v[54:55], v[146:147]
	s_delay_alu instid0(VALU_DEP_4) | instskip(SKIP_1) | instid1(VALU_DEP_4)
	v_add_f64_e32 v[148:149], v[148:149], v[158:159]
	v_mul_f64_e32 v[158:159], s[14:15], v[164:165]
	v_fma_f64 v[144:145], v[215:216], s[38:39], v[58:59]
	s_delay_alu instid0(VALU_DEP_1) | instskip(SKIP_1) | instid1(VALU_DEP_1)
	v_add_f64_e32 v[54:55], v[144:145], v[54:55]
	v_fma_f64 v[144:145], v[86:87], s[10:11], -v[203:204]
	v_add_f64_e32 v[50:51], v[144:145], v[50:51]
	v_fma_f64 v[144:145], v[92:93], s[10:11], v[2:3]
	v_fma_f64 v[2:3], v[92:93], s[10:11], -v[2:3]
	s_delay_alu instid0(VALU_DEP_3) | instskip(SKIP_1) | instid1(VALU_DEP_4)
	v_add_f64_e32 v[146:147], v[62:63], v[50:51]
	v_mul_f64_e32 v[50:51], s[54:55], v[190:191]
	v_add_f64_e32 v[54:55], v[144:145], v[54:55]
	s_delay_alu instid0(VALU_DEP_2) | instskip(SKIP_1) | instid1(VALU_DEP_2)
	v_fma_f64 v[62:63], v[227:228], s[26:27], v[50:51]
	v_fma_f64 v[50:51], v[227:228], s[26:27], -v[50:51]
	v_add_f64_e32 v[144:145], v[62:63], v[54:55]
	v_mul_f64_e32 v[54:55], s[54:55], v[166:167]
	s_delay_alu instid0(VALU_DEP_1) | instskip(SKIP_1) | instid1(VALU_DEP_2)
	v_fma_f64 v[62:63], v[197:198], s[26:27], -v[54:55]
	v_fma_f64 v[54:55], v[197:198], s[26:27], v[54:55]
	v_add_f64_e32 v[62:63], v[62:63], v[170:171]
	v_mul_f64_e32 v[170:171], s[42:43], v[233:234]
	s_delay_alu instid0(VALU_DEP_3) | instskip(SKIP_3) | instid1(VALU_DEP_1)
	v_add_f64_e32 v[54:55], v[54:55], v[14:15]
	scratch_load_b64 v[14:15], off, off offset:524 th:TH_LOAD_LU ; 8-byte Folded Reload
	v_add_f64_e32 v[62:63], v[150:151], v[62:63]
	v_fma_f64 v[150:151], v[192:193], s[2:3], v[158:159]
	v_add_f64_e32 v[148:149], v[150:151], v[148:149]
	v_fma_f64 v[150:151], v[24:25], s[34:35], -v[170:171]
	s_delay_alu instid0(VALU_DEP_2) | instskip(NEXT) | instid1(VALU_DEP_2)
	v_add_f64_e32 v[66:67], v[66:67], v[148:149]
	v_add_f64_e32 v[62:63], v[150:151], v[62:63]
	s_delay_alu instid0(VALU_DEP_1) | instskip(SKIP_1) | instid1(VALU_DEP_2)
	v_add_f64_e32 v[62:63], v[70:71], v[62:63]
	v_mul_f64_e32 v[70:71], s[50:51], v[18:19]
	v_add_f64_e32 v[62:63], v[74:75], v[62:63]
	s_delay_alu instid0(VALU_DEP_2) | instskip(SKIP_1) | instid1(VALU_DEP_3)
	v_fma_f64 v[148:149], v[207:208], s[22:23], v[70:71]
	v_mul_f64_e32 v[74:75], s[16:17], v[194:195]
	v_add_f64_e32 v[62:63], v[78:79], v[62:63]
	s_delay_alu instid0(VALU_DEP_3) | instskip(NEXT) | instid1(VALU_DEP_3)
	v_add_f64_e32 v[66:67], v[148:149], v[66:67]
	v_fma_f64 v[148:149], v[215:216], s[10:11], v[74:75]
	v_mul_f64_e32 v[78:79], s[44:45], v[201:202]
	s_delay_alu instid0(VALU_DEP_4) | instskip(SKIP_1) | instid1(VALU_DEP_4)
	v_add_f64_e32 v[150:151], v[82:83], v[62:63]
	v_mul_f64_e32 v[62:63], s[30:31], v[190:191]
	v_add_f64_e32 v[66:67], v[148:149], v[66:67]
	s_delay_alu instid0(VALU_DEP_4) | instskip(NEXT) | instid1(VALU_DEP_3)
	v_fma_f64 v[148:149], v[92:93], s[38:39], v[78:79]
	v_fma_f64 v[82:83], v[227:228], s[18:19], v[62:63]
	v_fma_f64 v[62:63], v[227:228], s[18:19], -v[62:63]
	s_delay_alu instid0(VALU_DEP_3) | instskip(NEXT) | instid1(VALU_DEP_1)
	v_add_f64_e32 v[66:67], v[148:149], v[66:67]
	v_add_f64_e32 v[148:149], v[82:83], v[66:67]
	v_fma_f64 v[66:67], v[221:222], s[26:27], -v[152:153]
	v_fma_f64 v[82:83], v[205:206], s[2:3], v[154:155]
	s_wait_loadcnt 0x0
	s_delay_alu instid0(VALU_DEP_2) | instskip(SKIP_3) | instid1(VALU_DEP_1)
	v_add_f64_e32 v[66:67], v[66:67], v[14:15]
	scratch_load_b64 v[14:15], off, off offset:516 th:TH_LOAD_LU ; 8-byte Folded Reload
	v_add_f64_e32 v[54:55], v[82:83], v[54:55]
	v_fma_f64 v[82:83], v[192:193], s[2:3], -v[158:159]
	v_add_f64_e32 v[66:67], v[82:83], v[66:67]
	v_fma_f64 v[82:83], v[24:25], s[34:35], v[170:171]
	s_delay_alu instid0(VALU_DEP_2) | instskip(NEXT) | instid1(VALU_DEP_2)
	v_add_f64_e32 v[64:65], v[64:65], v[66:67]
	v_add_f64_e32 v[54:55], v[82:83], v[54:55]
	v_fma_f64 v[66:67], v[188:189], s[22:23], v[68:69]
	s_delay_alu instid0(VALU_DEP_1)
	v_add_f64_e32 v[54:55], v[66:67], v[54:55]
	v_fma_f64 v[66:67], v[207:208], s[22:23], -v[70:71]
	v_dual_mov_b32 v68, v108 :: v_dual_mov_b32 v69, v109
	v_dual_mov_b32 v70, v110 :: v_dual_mov_b32 v71, v111
	;; [unrolled: 1-line block ×4, first 2 shown]
	v_add_f64_e32 v[64:65], v[66:67], v[64:65]
	v_fma_f64 v[66:67], v[94:95], s[10:11], v[72:73]
	s_delay_alu instid0(VALU_DEP_1) | instskip(SKIP_3) | instid1(VALU_DEP_3)
	v_add_f64_e32 v[54:55], v[66:67], v[54:55]
	v_fma_f64 v[66:67], v[215:216], s[10:11], -v[74:75]
	v_dual_mov_b32 v72, v104 :: v_dual_mov_b32 v73, v105
	v_dual_mov_b32 v74, v106 :: v_dual_mov_b32 v75, v107
	v_add_f64_e32 v[64:65], v[66:67], v[64:65]
	v_fma_f64 v[66:67], v[86:87], s[38:39], v[76:77]
	s_delay_alu instid0(VALU_DEP_1)
	v_add_f64_e32 v[54:55], v[66:67], v[54:55]
	v_fma_f64 v[66:67], v[92:93], s[38:39], -v[78:79]
	v_dual_mov_b32 v76, v120 :: v_dual_mov_b32 v77, v121
	v_dual_mov_b32 v78, v122 :: v_dual_mov_b32 v79, v123
	;; [unrolled: 1-line block ×4, first 2 shown]
	v_add_f64_e32 v[64:65], v[66:67], v[64:65]
	v_fma_f64 v[66:67], v[229:230], s[18:19], v[80:81]
	v_dual_mov_b32 v80, v116 :: v_dual_mov_b32 v81, v117
	v_dual_mov_b32 v82, v118 :: v_dual_mov_b32 v83, v119
	;; [unrolled: 1-line block ×3, first 2 shown]
	s_wait_loadcnt 0x0
	v_add_f64_e32 v[38:39], v[38:39], v[14:15]
	scratch_load_b64 v[14:15], off, off offset:508 th:TH_LOAD_LU ; 8-byte Folded Reload
	v_dual_mov_b32 v118, v138 :: v_dual_mov_b32 v119, v139
	v_dual_mov_b32 v136, v211 :: v_dual_mov_b32 v137, v212
	;; [unrolled: 1-line block ×3, first 2 shown]
	v_add_f64_e32 v[152:153], v[62:63], v[64:65]
	v_add_f64_e32 v[154:155], v[66:67], v[54:55]
	v_fma_f64 v[54:55], v[221:222], s[18:19], -v[156:157]
	v_fma_f64 v[62:63], v[205:206], s[22:23], v[160:161]
	v_dual_mov_b32 v67, v103 :: v_dual_mov_b32 v66, v102
	s_delay_alu instid0(VALU_DEP_2)
	v_add_f64_e32 v[38:39], v[62:63], v[38:39]
	v_fma_f64 v[62:63], v[192:193], s[22:23], -v[186:187]
	s_wait_loadcnt 0x0
	v_add_f64_e32 v[54:55], v[54:55], v[14:15]
	scratch_load_b64 v[14:15], off, off offset:500 th:TH_LOAD_LU ; 8-byte Folded Reload
	v_add_f64_e32 v[54:55], v[62:63], v[54:55]
	v_fma_f64 v[62:63], v[24:25], s[28:29], v[245:246]
	s_delay_alu instid0(VALU_DEP_1) | instskip(SKIP_1) | instid1(VALU_DEP_2)
	v_add_f64_e32 v[38:39], v[62:63], v[38:39]
	v_fma_f64 v[62:63], v[199:200], s[28:29], -v[247:248]
	v_add_f64_e32 v[38:39], v[48:49], v[38:39]
	s_delay_alu instid0(VALU_DEP_2) | instskip(SKIP_3) | instid1(VALU_DEP_3)
	v_add_f64_e32 v[54:55], v[62:63], v[54:55]
	v_fma_f64 v[48:49], v[207:208], s[2:3], -v[52:53]
	v_fma_f64 v[52:53], v[94:95], s[38:39], v[56:57]
	v_mul_f64_e32 v[62:63], s[24:25], v[190:191]
	v_add_f64_e32 v[48:49], v[48:49], v[54:55]
	s_delay_alu instid0(VALU_DEP_3) | instskip(SKIP_1) | instid1(VALU_DEP_1)
	v_add_f64_e32 v[38:39], v[52:53], v[38:39]
	v_fma_f64 v[52:53], v[215:216], s[38:39], -v[58:59]
	v_add_f64_e32 v[48:49], v[52:53], v[48:49]
	v_fma_f64 v[52:53], v[86:87], s[10:11], v[203:204]
	s_delay_alu instid0(VALU_DEP_2) | instskip(NEXT) | instid1(VALU_DEP_2)
	v_add_f64_e32 v[2:3], v[2:3], v[48:49]
	v_add_f64_e32 v[38:39], v[52:53], v[38:39]
	v_fma_f64 v[48:49], v[229:230], s[26:27], v[60:61]
	s_delay_alu instid0(VALU_DEP_3) | instskip(SKIP_1) | instid1(VALU_DEP_3)
	v_add_f64_e32 v[156:157], v[50:51], v[2:3]
	v_fma_f64 v[2:3], v[197:198], s[34:35], v[162:163]
	v_add_f64_e32 v[158:159], v[48:49], v[38:39]
	v_fma_f64 v[38:39], v[221:222], s[34:35], -v[168:169]
	v_fma_f64 v[48:49], v[205:206], s[10:11], v[209:210]
	s_wait_loadcnt 0x0
	s_delay_alu instid0(VALU_DEP_4)
	v_add_f64_e32 v[2:3], v[2:3], v[14:15]
	scratch_load_b64 v[14:15], off, off offset:492 th:TH_LOAD_LU ; 8-byte Folded Reload
	v_add_f64_e32 v[2:3], v[48:49], v[2:3]
	v_fma_f64 v[48:49], v[192:193], s[10:11], -v[249:250]
	scratch_load_b32 v249, off, off offset:348 ; 4-byte Folded Reload
	s_wait_loadcnt 0x1
	v_add_f64_e32 v[38:39], v[38:39], v[14:15]
	scratch_load_b64 v[14:15], off, off offset:428 th:TH_LOAD_LU ; 8-byte Folded Reload
	v_add_f64_e32 v[38:39], v[48:49], v[38:39]
	v_fma_f64 v[48:49], v[24:25], s[18:19], v[217:218]
	s_delay_alu instid0(VALU_DEP_1) | instskip(SKIP_1) | instid1(VALU_DEP_1)
	v_add_f64_e32 v[2:3], v[48:49], v[2:3]
	v_fma_f64 v[48:49], v[199:200], s[18:19], -v[231:232]
	v_add_f64_e32 v[38:39], v[48:49], v[38:39]
	v_fma_f64 v[48:49], v[188:189], s[38:39], v[26:27]
	s_delay_alu instid0(VALU_DEP_1) | instskip(SKIP_1) | instid1(VALU_DEP_2)
	v_add_f64_e32 v[2:3], v[48:49], v[2:3]
	v_fma_f64 v[48:49], v[207:208], s[38:39], -v[22:23]
	v_add_f64_e32 v[0:1], v[0:1], v[2:3]
	s_delay_alu instid0(VALU_DEP_2) | instskip(SKIP_3) | instid1(VALU_DEP_3)
	v_add_f64_e32 v[38:39], v[48:49], v[38:39]
	v_fma_f64 v[2:3], v[215:216], s[22:23], -v[36:37]
	v_fma_f64 v[36:37], v[86:87], s[2:3], v[40:41]
	v_mul_f64_e32 v[40:41], s[40:41], v[32:33]
	v_add_f64_e32 v[2:3], v[2:3], v[38:39]
	s_delay_alu instid0(VALU_DEP_3) | instskip(SKIP_3) | instid1(VALU_DEP_3)
	v_add_f64_e32 v[0:1], v[36:37], v[0:1]
	v_fma_f64 v[36:37], v[92:93], s[2:3], -v[44:45]
	v_fma_f64 v[38:39], v[227:228], s[28:29], -v[42:43]
	;; [unrolled: 1-line block ×3, first 2 shown]
	v_add_f64_e32 v[2:3], v[36:37], v[2:3]
	v_fma_f64 v[36:37], v[229:230], s[28:29], v[46:47]
	s_delay_alu instid0(VALU_DEP_2) | instskip(NEXT) | instid1(VALU_DEP_2)
	v_add_f64_e32 v[160:161], v[38:39], v[2:3]
	v_add_f64_e32 v[162:163], v[36:37], v[0:1]
	v_mul_f64_e32 v[36:37], s[14:15], v[12:13]
	scratch_load_b64 v[12:13], off, off offset:420 th:TH_LOAD_LU ; 8-byte Folded Reload
	v_mul_f64_e32 v[0:1], s[14:15], v[166:167]
	v_fma_f64 v[38:39], v[221:222], s[2:3], v[36:37]
	s_delay_alu instid0(VALU_DEP_2) | instskip(SKIP_2) | instid1(VALU_DEP_2)
	v_fma_f64 v[2:3], v[197:198], s[2:3], -v[0:1]
	v_fma_f64 v[0:1], v[197:198], s[2:3], v[0:1]
	s_wait_loadcnt 0x1
	v_add_f64_e32 v[2:3], v[2:3], v[14:15]
	s_delay_alu instid0(VALU_DEP_1) | instskip(SKIP_1) | instid1(VALU_DEP_1)
	v_add_f64_e32 v[2:3], v[42:43], v[2:3]
	v_mul_f64_e32 v[42:43], s[40:41], v[164:165]
	v_fma_f64 v[44:45], v[192:193], s[34:35], v[42:43]
	s_wait_loadcnt 0x0
	v_add_f64_e32 v[38:39], v[38:39], v[12:13]
	s_delay_alu instid0(VALU_DEP_1) | instskip(SKIP_1) | instid1(VALU_DEP_1)
	v_add_f64_e32 v[38:39], v[44:45], v[38:39]
	v_mul_f64_e32 v[44:45], s[16:17], v[233:234]
	v_fma_f64 v[46:47], v[24:25], s[10:11], -v[44:45]
	s_delay_alu instid0(VALU_DEP_1) | instskip(SKIP_1) | instid1(VALU_DEP_1)
	v_add_f64_e32 v[2:3], v[46:47], v[2:3]
	v_mul_f64_e32 v[46:47], s[16:17], v[16:17]
	v_fma_f64 v[48:49], v[199:200], s[10:11], v[46:47]
	s_delay_alu instid0(VALU_DEP_1) | instskip(SKIP_1) | instid1(VALU_DEP_1)
	v_add_f64_e32 v[38:39], v[48:49], v[38:39]
	v_mul_f64_e32 v[48:49], s[36:37], v[237:238]
	v_fma_f64 v[50:51], v[188:189], s[28:29], -v[48:49]
	s_delay_alu instid0(VALU_DEP_1) | instskip(SKIP_1) | instid1(VALU_DEP_1)
	v_add_f64_e32 v[2:3], v[50:51], v[2:3]
	v_mul_f64_e32 v[50:51], s[36:37], v[18:19]
	v_fma_f64 v[52:53], v[207:208], s[28:29], v[50:51]
	;; [unrolled: 8-line block ×4, first 2 shown]
	s_delay_alu instid0(VALU_DEP_1) | instskip(SKIP_1) | instid1(VALU_DEP_1)
	v_add_f64_e32 v[38:39], v[60:61], v[38:39]
	v_mul_f64_e32 v[60:61], s[24:25], v[84:85]
	v_fma_f64 v[64:65], v[229:230], s[22:23], -v[60:61]
	s_delay_alu instid0(VALU_DEP_1)
	v_add_f64_e32 v[166:167], v[64:65], v[2:3]
	v_fma_f64 v[2:3], v[227:228], s[22:23], v[62:63]
	v_dual_mov_b32 v65, v101 :: v_dual_mov_b32 v64, v100
	v_dual_mov_b32 v103, v7 :: v_dual_mov_b32 v102, v6
	;; [unrolled: 1-line block ×3, first 2 shown]
	scratch_load_b64 v[4:5], off, off offset:404 th:TH_LOAD_LU ; 8-byte Folded Reload
	v_add_f64_e32 v[164:165], v[2:3], v[38:39]
	scratch_load_b64 v[2:3], off, off offset:412 th:TH_LOAD_LU ; 8-byte Folded Reload
	v_fma_f64 v[38:39], v[227:228], s[22:23], -v[62:63]
	s_wait_loadcnt 0x0
	v_add_f64_e32 v[0:1], v[0:1], v[2:3]
	v_fma_f64 v[2:3], v[221:222], s[2:3], -v[36:37]
	v_fma_f64 v[36:37], v[205:206], s[34:35], v[40:41]
	s_delay_alu instid0(VALU_DEP_2) | instskip(NEXT) | instid1(VALU_DEP_2)
	v_add_f64_e32 v[2:3], v[2:3], v[4:5]
	v_add_f64_e32 v[0:1], v[36:37], v[0:1]
	v_fma_f64 v[36:37], v[192:193], s[34:35], -v[42:43]
	s_delay_alu instid0(VALU_DEP_1) | instskip(SKIP_1) | instid1(VALU_DEP_1)
	v_add_f64_e32 v[2:3], v[36:37], v[2:3]
	v_fma_f64 v[36:37], v[24:25], s[10:11], v[44:45]
	v_add_f64_e32 v[0:1], v[36:37], v[0:1]
	v_fma_f64 v[36:37], v[199:200], s[10:11], -v[46:47]
	s_delay_alu instid0(VALU_DEP_1)
	v_add_f64_e32 v[2:3], v[36:37], v[2:3]
	v_fma_f64 v[36:37], v[188:189], s[28:29], v[48:49]
	v_dual_mov_b32 v45, v88 :: v_dual_mov_b32 v46, v89
	v_dual_mov_b32 v47, v90 :: v_dual_mov_b32 v48, v91
	s_clause 0x3
	scratch_load_b32 v89, off, off offset:316
	scratch_load_b32 v88, off, off offset:340
	scratch_load_b128 v[140:143], off, off offset:324
	scratch_load_b64 v[4:5], off, off offset:452 th:TH_LOAD_LU
	v_add_f64_e32 v[0:1], v[36:37], v[0:1]
	v_fma_f64 v[36:37], v[207:208], s[28:29], -v[50:51]
	s_delay_alu instid0(VALU_DEP_1) | instskip(SKIP_3) | instid1(VALU_DEP_3)
	v_add_f64_e32 v[2:3], v[36:37], v[2:3]
	v_fma_f64 v[36:37], v[94:95], s[18:19], v[52:53]
	v_dual_mov_b32 v49, v223 :: v_dual_mov_b32 v50, v224
	v_dual_mov_b32 v51, v225 :: v_dual_mov_b32 v52, v226
	v_add_f64_e32 v[0:1], v[36:37], v[0:1]
	v_fma_f64 v[36:37], v[215:216], s[18:19], -v[54:55]
	s_delay_alu instid0(VALU_DEP_1)
	v_add_f64_e32 v[2:3], v[36:37], v[2:3]
	v_fma_f64 v[36:37], v[86:87], s[26:27], v[56:57]
	v_dual_mov_b32 v53, v96 :: v_dual_mov_b32 v54, v97
	v_dual_mov_b32 v55, v98 :: v_dual_mov_b32 v56, v99
	;; [unrolled: 1-line block ×6, first 2 shown]
	v_add_f64_e32 v[0:1], v[36:37], v[0:1]
	v_fma_f64 v[36:37], v[92:93], s[26:27], -v[58:59]
	s_delay_alu instid0(VALU_DEP_1) | instskip(SKIP_1) | instid1(VALU_DEP_2)
	v_add_f64_e32 v[2:3], v[36:37], v[2:3]
	v_fma_f64 v[36:37], v[229:230], s[22:23], v[60:61]
	v_add_f64_e32 v[168:169], v[38:39], v[2:3]
	s_delay_alu instid0(VALU_DEP_2)
	v_add_f64_e32 v[170:171], v[36:37], v[0:1]
	s_clause 0x1
	scratch_load_b64 v[0:1], off, off offset:436 th:TH_LOAD_LU
	scratch_load_b64 v[2:3], off, off offset:444 th:TH_LOAD_LU
	s_wait_loadcnt 0x2
	v_fma_f64 v[16:17], v[205:206], s[26:27], v[4:5]
	scratch_load_b64 v[4:5], off, off offset:396 th:TH_LOAD_LU ; 8-byte Folded Reload
	s_wait_loadcnt 0x2
	v_fma_f64 v[0:1], v[197:198], s[38:39], v[0:1]
	s_wait_loadcnt 0x0
	s_delay_alu instid0(VALU_DEP_1)
	v_add_f64_e32 v[0:1], v[0:1], v[4:5]
	scratch_load_b64 v[4:5], off, off offset:460 th:TH_LOAD_LU ; 8-byte Folded Reload
	v_add_f64_e32 v[0:1], v[16:17], v[0:1]
	s_wait_loadcnt 0x0
	v_fma_f64 v[18:19], v[192:193], s[26:27], -v[4:5]
	scratch_load_b64 v[4:5], off, off offset:388 th:TH_LOAD_LU ; 8-byte Folded Reload
	v_fma_f64 v[2:3], v[221:222], s[38:39], -v[2:3]
	s_wait_loadcnt 0x0
	s_delay_alu instid0(VALU_DEP_1)
	v_add_f64_e32 v[2:3], v[2:3], v[4:5]
	scratch_load_b64 v[4:5], off, off offset:468 th:TH_LOAD_LU ; 8-byte Folded Reload
	v_add_f64_e32 v[2:3], v[18:19], v[2:3]
	s_wait_loadcnt 0x0
	v_fma_f64 v[20:21], v[24:25], s[2:3], v[4:5]
	scratch_load_b64 v[4:5], off, off offset:476 th:TH_LOAD_LU ; 8-byte Folded Reload
	v_add_f64_e32 v[0:1], v[20:21], v[0:1]
	v_fma_f64 v[20:21], v[207:208], s[18:19], -v[253:254]
	s_wait_loadcnt 0x0
	v_fma_f64 v[16:17], v[199:200], s[2:3], -v[4:5]
	scratch_load_b64 v[4:5], off, off offset:484 th:TH_LOAD_LU ; 8-byte Folded Reload
	v_add_f64_e32 v[2:3], v[16:17], v[2:3]
	v_fma_f64 v[16:17], v[94:95], s[34:35], v[251:252]
	s_delay_alu instid0(VALU_DEP_2) | instskip(SKIP_3) | instid1(VALU_DEP_1)
	v_add_f64_e32 v[2:3], v[20:21], v[2:3]
	v_fma_f64 v[20:21], v[86:87], s[28:29], v[174:175]
	s_wait_loadcnt 0x0
	v_fma_f64 v[18:19], v[188:189], s[18:19], v[4:5]
	v_add_f64_e32 v[0:1], v[18:19], v[0:1]
	v_fma_f64 v[18:19], v[215:216], s[34:35], -v[184:185]
	s_delay_alu instid0(VALU_DEP_2) | instskip(SKIP_1) | instid1(VALU_DEP_3)
	v_add_f64_e32 v[0:1], v[16:17], v[0:1]
	v_fma_f64 v[16:17], v[92:93], s[28:29], -v[172:173]
	v_add_f64_e32 v[2:3], v[18:19], v[2:3]
	v_fma_f64 v[18:19], v[229:230], s[10:11], v[34:35]
	s_delay_alu instid0(VALU_DEP_4) | instskip(SKIP_1) | instid1(VALU_DEP_4)
	v_add_f64_e32 v[0:1], v[20:21], v[0:1]
	v_fma_f64 v[20:21], v[227:228], s[10:11], -v[30:31]
	v_add_f64_e32 v[2:3], v[16:17], v[2:3]
	s_delay_alu instid0(VALU_DEP_3)
	v_add_f64_e32 v[174:175], v[18:19], v[0:1]
	scratch_load_b32 v0, off, off           ; 4-byte Folded Reload
	v_add_f64_e32 v[172:173], v[20:21], v[2:3]
	scratch_load_b128 v[1:4], off, off offset:356 th:TH_LOAD_LU ; 16-byte Folded Reload
	s_wait_loadcnt 0x1
	v_mul_lo_u16 v0, v0, 17
	s_delay_alu instid0(VALU_DEP_1) | instskip(NEXT) | instid1(VALU_DEP_1)
	v_and_b32_e32 v0, 0xffff, v0
	v_lshlrev_b32_e32 v0, 4, v0
	s_wait_loadcnt 0x0
	ds_store_b128 v0, v[1:4]
	ds_store_b128 v0, v[176:179] offset:16
	ds_store_b128 v0, v[164:167] offset:32
	;; [unrolled: 1-line block ×8, first 2 shown]
	scratch_load_b128 v[1:4], off, off offset:372 th:TH_LOAD_LU ; 16-byte Folded Reload
	s_wait_loadcnt 0x0
	ds_store_b128 v0, v[1:4] offset:144
	ds_store_b128 v0, v[152:155] offset:160
	ds_store_b128 v0, v[156:159] offset:176
	ds_store_b128 v0, v[140:143] offset:192
	ds_store_b128 v0, v[211:214] offset:208
	ds_store_b128 v0, v[160:163] offset:224
	ds_store_b128 v0, v[168:171] offset:240
	ds_store_b128 v0, v[172:175] offset:256
.LBB0_17:
	s_wait_alu 0xfffe
	s_or_b32 exec_lo, exec_lo, s1
	global_wb scope:SCOPE_SE
	s_wait_storecnt_dscnt 0x0
	s_barrier_signal -1
	s_barrier_wait -1
	global_inv scope:SCOPE_SE
	ds_load_b128 v[0:3], v196 offset:11424
	ds_load_b128 v[4:7], v196 offset:13328
	;; [unrolled: 1-line block ×6, first 2 shown]
	scratch_load_b128 v[40:43], off, off offset:28 th:TH_LOAD_LU ; 16-byte Folded Reload
	s_wait_dscnt 0x5
	v_mul_f64_e32 v[16:17], v[55:56], v[2:3]
	v_mul_f64_e32 v[18:19], v[55:56], v[0:1]
	scratch_load_b128 v[55:58], off, off offset:44 th:TH_LOAD_LU ; 16-byte Folded Reload
	s_wait_dscnt 0x1
	v_mul_f64_e32 v[32:33], v[51:52], v[126:127]
	v_mul_f64_e32 v[34:35], v[51:52], v[124:125]
	s_wait_dscnt 0x0
	v_mul_f64_e32 v[36:37], v[47:48], v[130:131]
	v_mul_f64_e32 v[38:39], v[47:48], v[128:129]
	v_fma_f64 v[0:1], v[53:54], v[0:1], v[16:17]
	v_fma_f64 v[2:3], v[53:54], v[2:3], -v[18:19]
	s_wait_loadcnt 0x1
	v_mul_f64_e32 v[20:21], v[42:43], v[6:7]
	v_mul_f64_e32 v[22:23], v[42:43], v[4:5]
	s_wait_loadcnt 0x0
	v_mul_f64_e32 v[24:25], v[57:58], v[10:11]
	v_mul_f64_e32 v[26:27], v[57:58], v[8:9]
	scratch_load_b128 v[57:60], off, off offset:60 th:TH_LOAD_LU ; 16-byte Folded Reload
	v_fma_f64 v[4:5], v[40:41], v[4:5], v[20:21]
	v_fma_f64 v[6:7], v[40:41], v[6:7], -v[22:23]
	v_fma_f64 v[16:17], v[55:56], v[8:9], v[24:25]
	v_fma_f64 v[18:19], v[55:56], v[10:11], -v[26:27]
	;; [unrolled: 2-line block ×3, first 2 shown]
	s_wait_loadcnt 0x0
	v_mul_f64_e32 v[28:29], v[59:60], v[14:15]
	v_mul_f64_e32 v[30:31], v[59:60], v[12:13]
	s_delay_alu instid0(VALU_DEP_2) | instskip(NEXT) | instid1(VALU_DEP_2)
	v_fma_f64 v[20:21], v[57:58], v[12:13], v[28:29]
	v_fma_f64 v[22:23], v[57:58], v[14:15], -v[30:31]
	v_fma_f64 v[28:29], v[45:46], v[128:129], v[36:37]
	v_fma_f64 v[30:31], v[45:46], v[130:131], -v[38:39]
	ds_load_b128 v[8:11], v196
	ds_load_b128 v[12:15], v196 offset:1904
	ds_load_b128 v[40:43], v196 offset:3808
	;; [unrolled: 1-line block ×5, first 2 shown]
	global_wb scope:SCOPE_SE
	s_wait_dscnt 0x0
	s_barrier_signal -1
	s_barrier_wait -1
	global_inv scope:SCOPE_SE
	v_add_f64_e64 v[56:57], v[8:9], -v[0:1]
	v_add_f64_e64 v[58:59], v[10:11], -v[2:3]
	v_add_f64_e64 v[124:125], v[12:13], -v[4:5]
	v_add_f64_e64 v[126:127], v[14:15], -v[6:7]
	v_add_f64_e64 v[128:129], v[40:41], -v[16:17]
	v_add_f64_e64 v[130:131], v[42:43], -v[18:19]
	v_add_f64_e64 v[4:5], v[48:49], -v[24:25]
	v_add_f64_e64 v[6:7], v[50:51], -v[26:27]
	v_add_f64_e64 v[0:1], v[44:45], -v[20:21]
	v_add_f64_e64 v[2:3], v[46:47], -v[22:23]
	v_add_f64_e64 v[36:37], v[52:53], -v[28:29]
	v_add_f64_e64 v[38:39], v[54:55], -v[30:31]
	v_fma_f64 v[132:133], v[8:9], 2.0, -v[56:57]
	v_fma_f64 v[134:135], v[10:11], 2.0, -v[58:59]
	;; [unrolled: 1-line block ×12, first 2 shown]
	ds_store_b128 v64, v[132:135]
	ds_store_b128 v64, v[56:59] offset:272
	ds_store_b128 v89, v[12:15]
	ds_store_b128 v89, v[124:127] offset:272
	;; [unrolled: 2-line block ×6, first 2 shown]
	global_wb scope:SCOPE_SE
	s_wait_dscnt 0x0
	s_barrier_signal -1
	s_barrier_wait -1
	global_inv scope:SCOPE_SE
	ds_load_b128 v[44:47], v196
	ds_load_b128 v[128:131], v196 offset:3264
	ds_load_b128 v[124:127], v196 offset:6528
	;; [unrolled: 1-line block ×6, first 2 shown]
	s_and_saveexec_b32 s1, s0
	s_cbranch_execz .LBB0_19
; %bb.18:
	ds_load_b128 v[0:3], v196 offset:1904
	ds_load_b128 v[8:11], v196 offset:5168
	;; [unrolled: 1-line block ×7, first 2 shown]
.LBB0_19:
	s_wait_alu 0xfffe
	s_or_b32 exec_lo, exec_lo, s1
	s_clause 0x3
	scratch_load_b128 v[104:107], off, off offset:124 th:TH_LOAD_LU
	scratch_load_b128 v[86:89], off, off offset:108 th:TH_LOAD_LU
	;; [unrolled: 1-line block ×4, first 2 shown]
	s_wait_dscnt 0x1
	v_mul_f64_e32 v[24:25], v[98:99], v[58:59]
	v_mul_f64_e32 v[26:27], v[98:99], v[56:57]
	;; [unrolled: 1-line block ×4, first 2 shown]
	s_mov_b32 s10, 0x37e14327
	s_mov_b32 s16, 0xe976ee23
	;; [unrolled: 1-line block ×16, first 2 shown]
	s_wait_alu 0xfffe
	s_mov_b32 s22, s18
	s_mov_b32 s26, s24
	;; [unrolled: 1-line block ×4, first 2 shown]
	global_wb scope:SCOPE_SE
	s_wait_loadcnt_dscnt 0x0
	s_barrier_signal -1
	s_barrier_wait -1
	global_inv scope:SCOPE_SE
	v_fma_f64 v[24:25], v[96:97], v[56:57], v[24:25]
	v_fma_f64 v[26:27], v[96:97], v[58:59], -v[26:27]
	v_fma_f64 v[32:33], v[68:69], v[48:49], v[32:33]
	v_fma_f64 v[34:35], v[68:69], v[50:51], -v[34:35]
	v_mul_f64_e32 v[12:13], v[106:107], v[130:131]
	v_mul_f64_e32 v[14:15], v[106:107], v[128:129]
	;; [unrolled: 1-line block ×8, first 2 shown]
	v_fma_f64 v[12:13], v[104:105], v[128:129], v[12:13]
	v_fma_f64 v[14:15], v[104:105], v[130:131], -v[14:15]
	v_fma_f64 v[16:17], v[86:87], v[124:125], v[16:17]
	v_fma_f64 v[18:19], v[86:87], v[126:127], -v[18:19]
	;; [unrolled: 2-line block ×4, first 2 shown]
	v_add_f64_e32 v[52:53], v[16:17], v[24:25]
	v_add_f64_e32 v[54:55], v[18:19], v[26:27]
	;; [unrolled: 1-line block ×4, first 2 shown]
	v_add_f64_e64 v[16:17], v[16:17], -v[24:25]
	v_add_f64_e64 v[18:19], v[18:19], -v[26:27]
	v_add_f64_e32 v[24:25], v[28:29], v[32:33]
	v_add_f64_e32 v[26:27], v[30:31], v[34:35]
	v_add_f64_e64 v[28:29], v[32:33], -v[28:29]
	v_add_f64_e64 v[30:31], v[34:35], -v[30:31]
	;; [unrolled: 1-line block ×4, first 2 shown]
	v_add_f64_e32 v[12:13], v[52:53], v[48:49]
	v_add_f64_e32 v[14:15], v[54:55], v[50:51]
	v_add_f64_e64 v[32:33], v[48:49], -v[24:25]
	v_add_f64_e64 v[34:35], v[50:51], -v[26:27]
	;; [unrolled: 1-line block ×6, first 2 shown]
	v_add_f64_e32 v[16:17], v[28:29], v[16:17]
	v_add_f64_e32 v[18:19], v[30:31], v[18:19]
	v_add_f64_e64 v[28:29], v[20:21], -v[28:29]
	v_add_f64_e64 v[30:31], v[22:23], -v[30:31]
	v_add_f64_e32 v[64:65], v[24:25], v[12:13]
	v_add_f64_e32 v[66:67], v[26:27], v[14:15]
	v_add_f64_e64 v[24:25], v[24:25], -v[52:53]
	v_add_f64_e64 v[26:27], v[26:27], -v[54:55]
	v_mul_f64_e32 v[32:33], s[10:11], v[32:33]
	v_mul_f64_e32 v[34:35], s[10:11], v[34:35]
	;; [unrolled: 1-line block ×6, first 2 shown]
	v_add_f64_e32 v[16:17], v[16:17], v[20:21]
	v_add_f64_e32 v[18:19], v[18:19], v[22:23]
	;; [unrolled: 1-line block ×4, first 2 shown]
	v_add_f64_e64 v[44:45], v[52:53], -v[48:49]
	v_add_f64_e64 v[46:47], v[54:55], -v[50:51]
	v_mul_f64_e32 v[48:49], s[20:21], v[24:25]
	v_mul_f64_e32 v[50:51], s[20:21], v[26:27]
	v_fma_f64 v[20:21], v[24:25], s[20:21], v[32:33]
	v_fma_f64 v[22:23], v[26:27], s[20:21], v[34:35]
	;; [unrolled: 1-line block ×4, first 2 shown]
	v_fma_f64 v[52:53], v[60:61], s[2:3], -v[56:57]
	v_fma_f64 v[54:55], v[62:63], s[2:3], -v[58:59]
	s_wait_alu 0xfffe
	v_fma_f64 v[28:29], v[28:29], s[26:27], -v[68:69]
	v_fma_f64 v[30:31], v[30:31], s[26:27], -v[70:71]
	v_fma_f64 v[56:57], v[64:65], s[14:15], v[12:13]
	v_fma_f64 v[58:59], v[66:67], s[14:15], v[14:15]
	v_fma_f64 v[32:33], v[44:45], s[22:23], -v[32:33]
	v_fma_f64 v[34:35], v[46:47], s[22:23], -v[34:35]
	;; [unrolled: 1-line block ×4, first 2 shown]
	v_fma_f64 v[24:25], v[16:17], s[28:29], v[24:25]
	v_fma_f64 v[26:27], v[18:19], s[28:29], v[26:27]
	;; [unrolled: 1-line block ×6, first 2 shown]
	v_add_f64_e32 v[20:21], v[20:21], v[56:57]
	v_add_f64_e32 v[22:23], v[22:23], v[58:59]
	;; [unrolled: 1-line block ×7, first 2 shown]
	v_add_f64_e64 v[46:47], v[22:23], -v[24:25]
	v_add_f64_e32 v[48:49], v[18:19], v[28:29]
	v_add_f64_e64 v[50:51], v[30:31], -v[16:17]
	v_add_f64_e64 v[52:53], v[32:33], -v[62:63]
	v_add_f64_e32 v[54:55], v[60:61], v[34:35]
	v_add_f64_e32 v[56:57], v[62:63], v[32:33]
	v_add_f64_e64 v[58:59], v[34:35], -v[60:61]
	v_add_f64_e64 v[64:65], v[28:29], -v[18:19]
	v_add_f64_e32 v[66:67], v[16:17], v[30:31]
	v_add_f64_e64 v[68:69], v[20:21], -v[26:27]
	v_add_f64_e32 v[70:71], v[24:25], v[22:23]
	ds_store_b128 v249, v[12:15]
	ds_store_b128 v249, v[44:47] offset:544
	ds_store_b128 v249, v[48:51] offset:1088
	;; [unrolled: 1-line block ×6, first 2 shown]
	s_and_saveexec_b32 s1, s0
	s_cbranch_execz .LBB0_21
; %bb.20:
	s_clause 0x4
	scratch_load_b128 v[44:47], off, off offset:188 th:TH_LOAD_LU
	scratch_load_b128 v[48:51], off, off offset:204 th:TH_LOAD_LU
	;; [unrolled: 1-line block ×5, first 2 shown]
	s_wait_loadcnt 0x4
	v_mul_f64_e32 v[14:15], v[46:47], v[8:9]
	s_wait_loadcnt 0x3
	v_mul_f64_e32 v[16:17], v[50:51], v[140:141]
	v_mul_f64_e32 v[26:27], v[50:51], v[142:143]
	scratch_load_b128 v[50:53], off, off offset:220 th:TH_LOAD_LU ; 16-byte Folded Reload
	s_wait_loadcnt 0x3
	v_mul_f64_e32 v[12:13], v[60:61], v[136:137]
	s_wait_loadcnt 0x2
	v_mul_f64_e32 v[18:19], v[64:65], v[4:5]
	v_mul_f64_e32 v[20:21], v[46:47], v[10:11]
	;; [unrolled: 1-line block ×4, first 2 shown]
	s_wait_loadcnt 0x1
	v_mul_f64_e32 v[30:31], v[56:57], v[42:43]
	v_mul_f64_e32 v[32:33], v[56:57], v[40:41]
	v_fma_f64 v[10:11], v[44:45], v[10:11], -v[14:15]
	v_fma_f64 v[14:15], v[48:49], v[142:143], -v[16:17]
	;; [unrolled: 1-line block ×4, first 2 shown]
	v_fma_f64 v[8:9], v[44:45], v[8:9], v[20:21]
	v_fma_f64 v[16:17], v[58:59], v[136:137], v[22:23]
	;; [unrolled: 1-line block ×5, first 2 shown]
	v_fma_f64 v[24:25], v[54:55], v[42:43], -v[32:33]
	v_add_f64_e32 v[30:31], v[6:7], v[14:15]
	v_add_f64_e64 v[6:7], v[6:7], -v[14:15]
	v_add_f64_e32 v[32:33], v[8:9], v[16:17]
	v_add_f64_e64 v[8:9], v[8:9], -v[16:17]
	s_wait_loadcnt 0x0
	v_mul_f64_e32 v[28:29], v[52:53], v[38:39]
	v_mul_f64_e32 v[34:35], v[52:53], v[36:37]
	s_delay_alu instid0(VALU_DEP_2) | instskip(NEXT) | instid1(VALU_DEP_2)
	v_fma_f64 v[20:21], v[50:51], v[36:37], v[28:29]
	v_fma_f64 v[26:27], v[50:51], v[38:39], -v[34:35]
	v_add_f64_e32 v[28:29], v[10:11], v[12:13]
	v_add_f64_e32 v[34:35], v[4:5], v[18:19]
	v_add_f64_e64 v[4:5], v[4:5], -v[18:19]
	v_add_f64_e64 v[10:11], v[10:11], -v[12:13]
	;; [unrolled: 1-line block ×3, first 2 shown]
	v_add_f64_e32 v[18:19], v[24:25], v[26:27]
	v_add_f64_e32 v[20:21], v[22:23], v[20:21]
	;; [unrolled: 1-line block ×3, first 2 shown]
	v_add_f64_e64 v[22:23], v[26:27], -v[24:25]
	v_add_f64_e32 v[12:13], v[34:35], v[32:33]
	v_add_f64_e64 v[38:39], v[4:5], -v[8:9]
	v_add_f64_e64 v[42:43], v[6:7], -v[10:11]
	;; [unrolled: 1-line block ×5, first 2 shown]
	v_add_f64_e32 v[16:17], v[18:19], v[16:17]
	v_add_f64_e64 v[18:19], v[18:19], -v[30:31]
	v_add_f64_e64 v[40:41], v[22:23], -v[6:7]
	v_add_f64_e32 v[12:13], v[20:21], v[12:13]
	v_add_f64_e64 v[20:21], v[20:21], -v[34:35]
	v_add_f64_e64 v[44:45], v[8:9], -v[36:37]
	v_add_f64_e32 v[4:5], v[36:37], v[4:5]
	v_add_f64_e32 v[6:7], v[22:23], v[6:7]
	v_mul_f64_e32 v[36:37], s[2:3], v[38:39]
	v_add_f64_e64 v[22:23], v[10:11], -v[22:23]
	v_add_f64_e64 v[28:29], v[30:31], -v[28:29]
	v_mul_f64_e32 v[46:47], s[2:3], v[42:43]
	v_add_f64_e64 v[32:33], v[34:35], -v[32:33]
	v_mul_f64_e32 v[14:15], s[16:17], v[14:15]
	v_mul_f64_e32 v[24:25], s[10:11], v[24:25]
	v_mul_f64_e32 v[26:27], s[10:11], v[26:27]
	v_add_f64_e32 v[2:3], v[2:3], v[16:17]
	v_mul_f64_e32 v[30:31], s[20:21], v[18:19]
	v_mul_f64_e32 v[40:41], s[16:17], v[40:41]
	v_add_f64_e32 v[0:1], v[0:1], v[12:13]
	v_mul_f64_e32 v[34:35], s[20:21], v[20:21]
	v_add_f64_e32 v[4:5], v[4:5], v[8:9]
	v_add_f64_e32 v[6:7], v[6:7], v[10:11]
	v_fma_f64 v[8:9], v[44:45], s[24:25], v[14:15]
	v_fma_f64 v[10:11], v[18:19], s[20:21], v[24:25]
	;; [unrolled: 1-line block ×3, first 2 shown]
	v_fma_f64 v[20:21], v[44:45], s[26:27], -v[36:37]
	v_fma_f64 v[14:15], v[38:39], s[2:3], -v[14:15]
	v_fma_f64 v[16:17], v[16:17], s[14:15], v[2:3]
	v_fma_f64 v[24:25], v[28:29], s[22:23], -v[24:25]
	v_fma_f64 v[28:29], v[28:29], s[18:19], -v[30:31]
	v_fma_f64 v[30:31], v[22:23], s[24:25], v[40:41]
	v_fma_f64 v[12:13], v[12:13], s[14:15], v[0:1]
	v_fma_f64 v[22:23], v[22:23], s[26:27], -v[46:47]
	v_fma_f64 v[26:27], v[32:33], s[22:23], -v[26:27]
	v_fma_f64 v[32:33], v[32:33], s[18:19], -v[34:35]
	v_fma_f64 v[36:37], v[42:43], s[2:3], -v[40:41]
	v_fma_f64 v[8:9], v[4:5], s[28:29], v[8:9]
	v_fma_f64 v[20:21], v[4:5], s[28:29], v[20:21]
	;; [unrolled: 1-line block ×3, first 2 shown]
	v_add_f64_e32 v[34:35], v[10:11], v[16:17]
	v_add_f64_e32 v[24:25], v[24:25], v[16:17]
	;; [unrolled: 1-line block ×3, first 2 shown]
	v_fma_f64 v[28:29], v[6:7], s[28:29], v[30:31]
	v_add_f64_e32 v[38:39], v[18:19], v[12:13]
	v_fma_f64 v[30:31], v[6:7], s[28:29], v[22:23]
	v_add_f64_e32 v[40:41], v[26:27], v[12:13]
	v_add_f64_e32 v[12:13], v[32:33], v[12:13]
	v_fma_f64 v[36:37], v[6:7], s[28:29], v[36:37]
	v_add_f64_e64 v[26:27], v[34:35], -v[8:9]
	v_add_f64_e32 v[10:11], v[20:21], v[24:25]
	v_add_f64_e64 v[14:15], v[16:17], -v[4:5]
	v_add_f64_e32 v[18:19], v[4:5], v[16:17]
	v_add_f64_e64 v[22:23], v[24:25], -v[20:21]
	v_add_f64_e32 v[24:25], v[28:29], v[38:39]
	v_add_f64_e64 v[4:5], v[38:39], -v[28:29]
	s_clause 0x1
	scratch_load_b32 v28, off, off offset:172 th:TH_LOAD_LU
	scratch_load_b32 v29, off, off offset:180 th:TH_LOAD_LU
	v_add_f64_e32 v[20:21], v[30:31], v[40:41]
	v_add_f64_e64 v[16:17], v[12:13], -v[36:37]
	v_add_f64_e32 v[12:13], v[36:37], v[12:13]
	v_add_f64_e32 v[6:7], v[8:9], v[34:35]
	v_add_f64_e64 v[8:9], v[40:41], -v[30:31]
	s_wait_loadcnt 0x1
	v_and_b32_e32 v28, 0xffff, v28
	s_delay_alu instid0(VALU_DEP_1) | instskip(SKIP_1) | instid1(VALU_DEP_1)
	v_mul_u32_u24_e32 v28, 0xee, v28
	s_wait_loadcnt 0x0
	v_add_lshl_u32 v28, v28, v29, 4
	ds_store_b128 v28, v[0:3]
	ds_store_b128 v28, v[24:27] offset:544
	ds_store_b128 v28, v[20:23] offset:1088
	;; [unrolled: 1-line block ×6, first 2 shown]
.LBB0_21:
	s_wait_alu 0xfffe
	s_or_b32 exec_lo, exec_lo, s1
	global_wb scope:SCOPE_SE
	s_wait_dscnt 0x0
	s_barrier_signal -1
	s_barrier_wait -1
	global_inv scope:SCOPE_SE
	ds_load_b128 v[0:3], v196 offset:11424
	ds_load_b128 v[4:7], v196 offset:19040
	;; [unrolled: 1-line block ×4, first 2 shown]
	s_clause 0x1
	scratch_load_b128 v[64:67], off, off offset:140 th:TH_LOAD_LU
	scratch_load_b128 v[68:71], off, off offset:156 th:TH_LOAD_LU
	ds_load_b128 v[16:19], v196 offset:3808
	ds_load_b128 v[20:23], v196 offset:5712
	s_mov_b32 s0, 0xe8584caa
	s_mov_b32 s1, 0xbfebb67a
	;; [unrolled: 1-line block ×3, first 2 shown]
	s_wait_alu 0xfffe
	s_mov_b32 s2, s0
	s_wait_dscnt 0x5
	v_mul_f64_e32 v[24:25], v[114:115], v[0:1]
	v_mul_f64_e32 v[42:43], v[114:115], v[2:3]
	s_wait_dscnt 0x3
	v_mul_f64_e32 v[28:29], v[122:123], v[8:9]
	s_wait_dscnt 0x1
	v_mul_f64_e32 v[40:41], v[102:103], v[16:17]
	v_mul_f64_e32 v[52:53], v[102:103], v[18:19]
	s_wait_dscnt 0x0
	v_mul_f64_e32 v[62:63], v[74:75], v[22:23]
	v_fma_f64 v[46:47], v[112:113], v[2:3], -v[24:25]
	v_mul_f64_e32 v[2:3], v[74:75], v[20:21]
	v_fma_f64 v[42:43], v[112:113], v[0:1], v[42:43]
	v_fma_f64 v[18:19], v[100:101], v[18:19], -v[40:41]
	v_fma_f64 v[16:17], v[100:101], v[16:17], v[52:53]
	v_fma_f64 v[20:21], v[72:73], v[20:21], v[62:63]
	v_fma_f64 v[22:23], v[72:73], v[22:23], -v[2:3]
	s_wait_loadcnt 0x1
	v_mul_f64_e32 v[26:27], v[66:67], v[4:5]
	s_wait_loadcnt 0x0
	v_mul_f64_e32 v[30:31], v[70:71], v[12:13]
	v_mul_f64_e32 v[44:45], v[66:67], v[6:7]
	;; [unrolled: 1-line block ×3, first 2 shown]
	s_delay_alu instid0(VALU_DEP_4)
	v_fma_f64 v[48:49], v[64:65], v[6:7], -v[26:27]
	v_mul_f64_e32 v[6:7], v[122:123], v[10:11]
	v_fma_f64 v[10:11], v[120:121], v[10:11], -v[28:29]
	v_fma_f64 v[14:15], v[68:69], v[14:15], -v[30:31]
	ds_load_b128 v[24:27], v196 offset:7616
	ds_load_b128 v[28:31], v196 offset:15232
	;; [unrolled: 1-line block ×4, first 2 shown]
	v_fma_f64 v[44:45], v[64:65], v[4:5], v[44:45]
	v_fma_f64 v[12:13], v[68:69], v[12:13], v[50:51]
	s_wait_dscnt 0x3
	v_mul_f64_e32 v[54:55], v[118:119], v[26:27]
	v_mul_f64_e32 v[56:57], v[118:119], v[24:25]
	s_wait_dscnt 0x2
	v_mul_f64_e32 v[58:59], v[110:111], v[30:31]
	v_mul_f64_e32 v[60:61], v[110:111], v[28:29]
	s_wait_dscnt 0x1
	v_mul_f64_e32 v[4:5], v[78:79], v[34:35]
	v_mul_f64_e32 v[40:41], v[78:79], v[32:33]
	s_wait_dscnt 0x0
	v_mul_f64_e32 v[64:65], v[82:83], v[38:39]
	v_mul_f64_e32 v[66:67], v[82:83], v[36:37]
	v_add_f64_e32 v[0:1], v[46:47], v[48:49]
	v_fma_f64 v[8:9], v[120:121], v[8:9], v[6:7]
	v_add_f64_e32 v[2:3], v[10:11], v[14:15]
	v_add_f64_e64 v[68:69], v[10:11], -v[14:15]
	v_add_f64_e32 v[6:7], v[42:43], v[44:45]
	v_add_f64_e64 v[50:51], v[42:43], -v[44:45]
	v_add_f64_e32 v[10:11], v[22:23], v[10:11]
	v_fma_f64 v[24:25], v[116:117], v[24:25], v[54:55]
	v_fma_f64 v[26:27], v[116:117], v[26:27], -v[56:57]
	v_fma_f64 v[28:29], v[108:109], v[28:29], v[58:59]
	v_fma_f64 v[30:31], v[108:109], v[30:31], -v[60:61]
	;; [unrolled: 2-line block ×4, first 2 shown]
	v_add_f64_e64 v[58:59], v[46:47], -v[48:49]
	v_fma_f64 v[0:1], v[0:1], -0.5, v[18:19]
	v_add_f64_e32 v[4:5], v[8:9], v[12:13]
	v_add_f64_e64 v[40:41], v[8:9], -v[12:13]
	v_fma_f64 v[52:53], v[2:3], -0.5, v[22:23]
	v_add_f64_e32 v[18:19], v[18:19], v[46:47]
	v_fma_f64 v[60:61], v[6:7], -0.5, v[16:17]
	v_add_f64_e32 v[16:17], v[16:17], v[42:43]
	v_add_f64_e32 v[8:9], v[20:21], v[8:9]
	;; [unrolled: 1-line block ×5, first 2 shown]
	v_add_f64_e64 v[74:75], v[26:27], -v[30:31]
	v_add_f64_e32 v[64:65], v[32:33], v[36:37]
	v_add_f64_e32 v[66:67], v[34:35], v[38:39]
	v_add_f64_e64 v[46:47], v[34:35], -v[38:39]
	s_wait_alu 0xfffe
	v_fma_f64 v[62:63], v[50:51], s[2:3], v[0:1]
	v_fma_f64 v[50:51], v[50:51], s[0:1], v[0:1]
	v_fma_f64 v[70:71], v[4:5], -0.5, v[20:21]
	v_fma_f64 v[72:73], v[40:41], s[2:3], v[52:53]
	v_fma_f64 v[40:41], v[40:41], s[0:1], v[52:53]
	ds_load_b128 v[0:3], v196
	ds_load_b128 v[4:7], v196 offset:1904
	v_fma_f64 v[20:21], v[58:59], s[0:1], v[60:61]
	v_fma_f64 v[22:23], v[58:59], s[2:3], v[60:61]
	v_add_f64_e32 v[16:17], v[16:17], v[44:45]
	v_add_f64_e32 v[18:19], v[18:19], v[48:49]
	;; [unrolled: 1-line block ×3, first 2 shown]
	s_wait_dscnt 0x1
	v_add_f64_e32 v[52:53], v[0:1], v[24:25]
	v_add_f64_e32 v[26:27], v[2:3], v[26:27]
	s_wait_dscnt 0x0
	v_add_f64_e32 v[42:43], v[4:5], v[32:33]
	v_add_f64_e32 v[34:35], v[6:7], v[34:35]
	v_add_f64_e64 v[24:25], v[24:25], -v[28:29]
	v_fma_f64 v[0:1], v[54:55], -0.5, v[0:1]
	v_fma_f64 v[2:3], v[56:57], -0.5, v[2:3]
	v_add_f64_e64 v[32:33], v[32:33], -v[36:37]
	v_fma_f64 v[4:5], v[64:65], -0.5, v[4:5]
	v_fma_f64 v[6:7], v[66:67], -0.5, v[6:7]
	v_mul_f64_e32 v[54:55], s[0:1], v[62:63]
	v_mul_f64_e32 v[58:59], 0.5, v[62:63]
	v_mul_f64_e32 v[56:57], s[0:1], v[50:51]
	v_fma_f64 v[60:61], v[68:69], s[0:1], v[70:71]
	v_mul_f64_e32 v[64:65], s[0:1], v[72:73]
	v_mul_f64_e32 v[66:67], 0.5, v[72:73]
	v_mul_f64_e32 v[50:51], -0.5, v[50:51]
	v_fma_f64 v[62:63], v[68:69], s[2:3], v[70:71]
	v_mul_f64_e32 v[68:69], s[0:1], v[40:41]
	v_mul_f64_e32 v[40:41], -0.5, v[40:41]
	v_add_f64_e32 v[28:29], v[52:53], v[28:29]
	v_add_f64_e32 v[26:27], v[26:27], v[30:31]
	;; [unrolled: 1-line block ×4, first 2 shown]
	v_fma_f64 v[36:37], v[74:75], s[0:1], v[0:1]
	v_fma_f64 v[42:43], v[24:25], s[2:3], v[2:3]
	v_fma_f64 v[44:45], v[24:25], s[0:1], v[2:3]
	v_fma_f64 v[38:39], v[74:75], s[2:3], v[0:1]
	v_fma_f64 v[24:25], v[20:21], 0.5, v[54:55]
	v_fma_f64 v[52:53], v[20:21], s[2:3], v[58:59]
	v_fma_f64 v[48:49], v[22:23], -0.5, v[56:57]
	v_fma_f64 v[54:55], v[46:47], s[0:1], v[4:5]
	v_fma_f64 v[56:57], v[32:33], s[2:3], v[6:7]
	v_fma_f64 v[64:65], v[60:61], 0.5, v[64:65]
	v_fma_f64 v[60:61], v[60:61], s[2:3], v[66:67]
	v_fma_f64 v[50:51], v[22:23], s[2:3], v[50:51]
	;; [unrolled: 1-line block ×4, first 2 shown]
	v_fma_f64 v[66:67], v[62:63], -0.5, v[68:69]
	v_fma_f64 v[62:63], v[62:63], s[2:3], v[40:41]
	v_add_f64_e32 v[0:1], v[28:29], v[16:17]
	v_add_f64_e32 v[2:3], v[26:27], v[18:19]
	;; [unrolled: 1-line block ×4, first 2 shown]
	v_add_f64_e64 v[4:5], v[28:29], -v[16:17]
	v_add_f64_e64 v[6:7], v[26:27], -v[18:19]
	;; [unrolled: 1-line block ×4, first 2 shown]
	v_add_f64_e32 v[16:17], v[36:37], v[24:25]
	v_add_f64_e32 v[18:19], v[42:43], v[52:53]
	;; [unrolled: 1-line block ×3, first 2 shown]
	v_add_f64_e64 v[24:25], v[36:37], -v[24:25]
	v_add_f64_e64 v[28:29], v[38:39], -v[48:49]
	v_add_f64_e32 v[32:33], v[54:55], v[64:65]
	v_add_f64_e32 v[34:35], v[56:57], v[60:61]
	;; [unrolled: 1-line block ×3, first 2 shown]
	v_add_f64_e64 v[26:27], v[42:43], -v[52:53]
	v_add_f64_e64 v[40:41], v[54:55], -v[64:65]
	v_add_f64_e32 v[36:37], v[46:47], v[66:67]
	v_add_f64_e32 v[38:39], v[58:59], v[62:63]
	v_add_f64_e64 v[42:43], v[56:57], -v[60:61]
	v_add_f64_e64 v[30:31], v[44:45], -v[50:51]
	;; [unrolled: 1-line block ×4, first 2 shown]
	ds_store_b128 v196, v[0:3]
	ds_store_b128 v196, v[8:11] offset:1904
	ds_store_b128 v196, v[4:7] offset:11424
	;; [unrolled: 1-line block ×11, first 2 shown]
	global_wb scope:SCOPE_SE
	s_wait_dscnt 0x0
	s_barrier_signal -1
	s_barrier_wait -1
	global_inv scope:SCOPE_SE
	s_and_b32 exec_lo, exec_lo, vcc_lo
	s_cbranch_execz .LBB0_23
; %bb.22:
	global_load_b128 v[0:3], v255, s[8:9]
	ds_load_b128 v[4:7], v196
	ds_load_b128 v[8:11], v255 offset:1344
	ds_load_b128 v[12:15], v255 offset:21504
	s_mov_b32 s0, 0x16f26017
	s_mov_b32 s1, 0x3f46f260
	s_mul_u64 s[2:3], s[4:5], 0x540
	scratch_load_b32 v19, off, off th:TH_LOAD_LU ; 4-byte Folded Reload
	s_wait_loadcnt_dscnt 0x102
	v_mul_f64_e32 v[16:17], v[6:7], v[2:3]
	v_mul_f64_e32 v[2:3], v[4:5], v[2:3]
	s_delay_alu instid0(VALU_DEP_2) | instskip(NEXT) | instid1(VALU_DEP_2)
	v_fma_f64 v[4:5], v[4:5], v[0:1], v[16:17]
	v_fma_f64 v[2:3], v[0:1], v[6:7], -v[2:3]
	scratch_load_b64 v[0:1], off, off offset:4 th:TH_LOAD_LU ; 8-byte Folded Reload
	s_wait_loadcnt 0x1
	v_mad_co_u64_u32 v[16:17], null, s4, v19, 0
	s_wait_alu 0xfffe
	v_mul_f64_e32 v[2:3], s[0:1], v[2:3]
	s_wait_loadcnt 0x0
	v_mov_b32_e32 v18, v0
	v_mul_f64_e32 v[0:1], s[0:1], v[4:5]
	s_delay_alu instid0(VALU_DEP_4) | instskip(NEXT) | instid1(VALU_DEP_3)
	v_mov_b32_e32 v5, v17
	v_mad_co_u64_u32 v[6:7], null, s6, v18, 0
	s_delay_alu instid0(VALU_DEP_1) | instskip(NEXT) | instid1(VALU_DEP_1)
	v_mov_b32_e32 v4, v7
	v_mad_co_u64_u32 v[17:18], null, s7, v18, v[4:5]
	s_delay_alu instid0(VALU_DEP_3) | instskip(NEXT) | instid1(VALU_DEP_2)
	v_mad_co_u64_u32 v[4:5], null, s5, v19, v[5:6]
	v_mov_b32_e32 v7, v17
	s_delay_alu instid0(VALU_DEP_2) | instskip(NEXT) | instid1(VALU_DEP_2)
	v_mov_b32_e32 v17, v4
	v_lshlrev_b64_e32 v[4:5], 4, v[6:7]
	s_delay_alu instid0(VALU_DEP_2) | instskip(NEXT) | instid1(VALU_DEP_2)
	v_lshlrev_b64_e32 v[6:7], 4, v[16:17]
	v_add_co_u32 v4, vcc_lo, s12, v4
	s_delay_alu instid0(VALU_DEP_3) | instskip(NEXT) | instid1(VALU_DEP_2)
	v_add_co_ci_u32_e32 v5, vcc_lo, s13, v5, vcc_lo
	v_add_co_u32 v4, vcc_lo, v4, v6
	s_wait_alu 0xfffd
	s_delay_alu instid0(VALU_DEP_2) | instskip(NEXT) | instid1(VALU_DEP_2)
	v_add_co_ci_u32_e32 v5, vcc_lo, v5, v7, vcc_lo
	v_add_co_u32 v16, vcc_lo, v4, s2
	global_store_b128 v[4:5], v[0:3], off
	s_wait_alu 0xfffd
	v_add_co_ci_u32_e32 v17, vcc_lo, s3, v5, vcc_lo
	global_load_b128 v[0:3], v255, s[8:9] offset:1344
	s_wait_loadcnt_dscnt 0x1
	v_mul_f64_e32 v[6:7], v[10:11], v[2:3]
	v_mul_f64_e32 v[2:3], v[8:9], v[2:3]
	s_delay_alu instid0(VALU_DEP_2) | instskip(NEXT) | instid1(VALU_DEP_2)
	v_fma_f64 v[6:7], v[8:9], v[0:1], v[6:7]
	v_fma_f64 v[2:3], v[0:1], v[10:11], -v[2:3]
	s_delay_alu instid0(VALU_DEP_2) | instskip(NEXT) | instid1(VALU_DEP_2)
	v_mul_f64_e32 v[0:1], s[0:1], v[6:7]
	v_mul_f64_e32 v[2:3], s[0:1], v[2:3]
	global_store_b128 v[16:17], v[0:3], off
	global_load_b128 v[0:3], v255, s[8:9] offset:2688
	ds_load_b128 v[4:7], v255 offset:2688
	ds_load_b128 v[8:11], v255 offset:4032
	s_wait_loadcnt_dscnt 0x1
	v_mul_f64_e32 v[18:19], v[6:7], v[2:3]
	v_mul_f64_e32 v[2:3], v[4:5], v[2:3]
	s_delay_alu instid0(VALU_DEP_2) | instskip(NEXT) | instid1(VALU_DEP_2)
	v_fma_f64 v[4:5], v[4:5], v[0:1], v[18:19]
	v_fma_f64 v[2:3], v[0:1], v[6:7], -v[2:3]
	s_delay_alu instid0(VALU_DEP_2) | instskip(NEXT) | instid1(VALU_DEP_2)
	v_mul_f64_e32 v[0:1], s[0:1], v[4:5]
	v_mul_f64_e32 v[2:3], s[0:1], v[2:3]
	v_add_co_u32 v4, vcc_lo, v16, s2
	s_wait_alu 0xfffd
	v_add_co_ci_u32_e32 v5, vcc_lo, s3, v17, vcc_lo
	s_delay_alu instid0(VALU_DEP_2) | instskip(SKIP_1) | instid1(VALU_DEP_2)
	v_add_co_u32 v16, vcc_lo, v4, s2
	s_wait_alu 0xfffd
	v_add_co_ci_u32_e32 v17, vcc_lo, s3, v5, vcc_lo
	global_store_b128 v[4:5], v[0:3], off
	global_load_b128 v[0:3], v255, s[8:9] offset:4032
	s_wait_loadcnt_dscnt 0x0
	v_mul_f64_e32 v[6:7], v[10:11], v[2:3]
	v_mul_f64_e32 v[2:3], v[8:9], v[2:3]
	s_delay_alu instid0(VALU_DEP_2) | instskip(NEXT) | instid1(VALU_DEP_2)
	v_fma_f64 v[6:7], v[8:9], v[0:1], v[6:7]
	v_fma_f64 v[2:3], v[0:1], v[10:11], -v[2:3]
	s_delay_alu instid0(VALU_DEP_2) | instskip(NEXT) | instid1(VALU_DEP_2)
	v_mul_f64_e32 v[0:1], s[0:1], v[6:7]
	v_mul_f64_e32 v[2:3], s[0:1], v[2:3]
	global_store_b128 v[16:17], v[0:3], off
	global_load_b128 v[0:3], v255, s[8:9] offset:5376
	ds_load_b128 v[4:7], v255 offset:5376
	ds_load_b128 v[8:11], v255 offset:6720
	s_wait_loadcnt_dscnt 0x1
	v_mul_f64_e32 v[18:19], v[6:7], v[2:3]
	v_mul_f64_e32 v[2:3], v[4:5], v[2:3]
	s_delay_alu instid0(VALU_DEP_2) | instskip(NEXT) | instid1(VALU_DEP_2)
	v_fma_f64 v[4:5], v[4:5], v[0:1], v[18:19]
	v_fma_f64 v[2:3], v[0:1], v[6:7], -v[2:3]
	s_delay_alu instid0(VALU_DEP_2) | instskip(NEXT) | instid1(VALU_DEP_2)
	v_mul_f64_e32 v[0:1], s[0:1], v[4:5]
	v_mul_f64_e32 v[2:3], s[0:1], v[2:3]
	v_add_co_u32 v4, vcc_lo, v16, s2
	s_wait_alu 0xfffd
	v_add_co_ci_u32_e32 v5, vcc_lo, s3, v17, vcc_lo
	s_delay_alu instid0(VALU_DEP_2) | instskip(SKIP_1) | instid1(VALU_DEP_2)
	v_add_co_u32 v16, vcc_lo, v4, s2
	s_wait_alu 0xfffd
	v_add_co_ci_u32_e32 v17, vcc_lo, s3, v5, vcc_lo
	global_store_b128 v[4:5], v[0:3], off
	;; [unrolled: 31-line block ×6, first 2 shown]
	global_load_b128 v[0:3], v255, s[8:9] offset:17472
	s_wait_loadcnt_dscnt 0x0
	v_mul_f64_e32 v[6:7], v[10:11], v[2:3]
	v_mul_f64_e32 v[2:3], v[8:9], v[2:3]
	s_delay_alu instid0(VALU_DEP_2) | instskip(NEXT) | instid1(VALU_DEP_2)
	v_fma_f64 v[6:7], v[8:9], v[0:1], v[6:7]
	v_fma_f64 v[2:3], v[0:1], v[10:11], -v[2:3]
	s_delay_alu instid0(VALU_DEP_2) | instskip(NEXT) | instid1(VALU_DEP_2)
	v_mul_f64_e32 v[0:1], s[0:1], v[6:7]
	v_mul_f64_e32 v[2:3], s[0:1], v[2:3]
	global_store_b128 v[16:17], v[0:3], off
	global_load_b128 v[0:3], v255, s[8:9] offset:18816
	ds_load_b128 v[4:7], v255 offset:18816
	ds_load_b128 v[8:11], v255 offset:20160
	s_wait_loadcnt_dscnt 0x1
	v_mul_f64_e32 v[18:19], v[6:7], v[2:3]
	v_mul_f64_e32 v[2:3], v[4:5], v[2:3]
	s_delay_alu instid0(VALU_DEP_2) | instskip(NEXT) | instid1(VALU_DEP_2)
	v_fma_f64 v[4:5], v[4:5], v[0:1], v[18:19]
	v_fma_f64 v[2:3], v[0:1], v[6:7], -v[2:3]
	s_delay_alu instid0(VALU_DEP_2) | instskip(NEXT) | instid1(VALU_DEP_2)
	v_mul_f64_e32 v[0:1], s[0:1], v[4:5]
	v_mul_f64_e32 v[2:3], s[0:1], v[2:3]
	v_add_co_u32 v4, vcc_lo, v16, s2
	s_wait_alu 0xfffd
	v_add_co_ci_u32_e32 v5, vcc_lo, s3, v17, vcc_lo
	global_store_b128 v[4:5], v[0:3], off
	global_load_b128 v[0:3], v255, s[8:9] offset:20160
	v_add_co_u32 v4, vcc_lo, v4, s2
	s_wait_alu 0xfffd
	v_add_co_ci_u32_e32 v5, vcc_lo, s3, v5, vcc_lo
	s_wait_loadcnt_dscnt 0x0
	v_mul_f64_e32 v[6:7], v[10:11], v[2:3]
	v_mul_f64_e32 v[2:3], v[8:9], v[2:3]
	s_delay_alu instid0(VALU_DEP_2) | instskip(NEXT) | instid1(VALU_DEP_2)
	v_fma_f64 v[6:7], v[8:9], v[0:1], v[6:7]
	v_fma_f64 v[2:3], v[0:1], v[10:11], -v[2:3]
	s_delay_alu instid0(VALU_DEP_2) | instskip(NEXT) | instid1(VALU_DEP_2)
	v_mul_f64_e32 v[0:1], s[0:1], v[6:7]
	v_mul_f64_e32 v[2:3], s[0:1], v[2:3]
	global_store_b128 v[4:5], v[0:3], off
	global_load_b128 v[0:3], v255, s[8:9] offset:21504
	v_add_co_u32 v4, vcc_lo, v4, s2
	s_wait_alu 0xfffd
	v_add_co_ci_u32_e32 v5, vcc_lo, s3, v5, vcc_lo
	s_wait_loadcnt 0x0
	v_mul_f64_e32 v[6:7], v[14:15], v[2:3]
	v_mul_f64_e32 v[2:3], v[12:13], v[2:3]
	s_delay_alu instid0(VALU_DEP_2) | instskip(NEXT) | instid1(VALU_DEP_2)
	v_fma_f64 v[6:7], v[12:13], v[0:1], v[6:7]
	v_fma_f64 v[2:3], v[0:1], v[14:15], -v[2:3]
	s_delay_alu instid0(VALU_DEP_2) | instskip(NEXT) | instid1(VALU_DEP_2)
	v_mul_f64_e32 v[0:1], s[0:1], v[6:7]
	v_mul_f64_e32 v[2:3], s[0:1], v[2:3]
	global_store_b128 v[4:5], v[0:3], off
.LBB0_23:
	s_endpgm
	.section	.rodata,"a",@progbits
	.p2align	6, 0x0
	.amdhsa_kernel bluestein_single_fwd_len1428_dim1_dp_op_CI_CI
		.amdhsa_group_segment_fixed_size 22848
		.amdhsa_private_segment_fixed_size 544
		.amdhsa_kernarg_size 104
		.amdhsa_user_sgpr_count 2
		.amdhsa_user_sgpr_dispatch_ptr 0
		.amdhsa_user_sgpr_queue_ptr 0
		.amdhsa_user_sgpr_kernarg_segment_ptr 1
		.amdhsa_user_sgpr_dispatch_id 0
		.amdhsa_user_sgpr_private_segment_size 0
		.amdhsa_wavefront_size32 1
		.amdhsa_uses_dynamic_stack 0
		.amdhsa_enable_private_segment 1
		.amdhsa_system_sgpr_workgroup_id_x 1
		.amdhsa_system_sgpr_workgroup_id_y 0
		.amdhsa_system_sgpr_workgroup_id_z 0
		.amdhsa_system_sgpr_workgroup_info 0
		.amdhsa_system_vgpr_workitem_id 0
		.amdhsa_next_free_vgpr 256
		.amdhsa_next_free_sgpr 60
		.amdhsa_reserve_vcc 1
		.amdhsa_float_round_mode_32 0
		.amdhsa_float_round_mode_16_64 0
		.amdhsa_float_denorm_mode_32 3
		.amdhsa_float_denorm_mode_16_64 3
		.amdhsa_fp16_overflow 0
		.amdhsa_workgroup_processor_mode 1
		.amdhsa_memory_ordered 1
		.amdhsa_forward_progress 0
		.amdhsa_round_robin_scheduling 0
		.amdhsa_exception_fp_ieee_invalid_op 0
		.amdhsa_exception_fp_denorm_src 0
		.amdhsa_exception_fp_ieee_div_zero 0
		.amdhsa_exception_fp_ieee_overflow 0
		.amdhsa_exception_fp_ieee_underflow 0
		.amdhsa_exception_fp_ieee_inexact 0
		.amdhsa_exception_int_div_zero 0
	.end_amdhsa_kernel
	.text
.Lfunc_end0:
	.size	bluestein_single_fwd_len1428_dim1_dp_op_CI_CI, .Lfunc_end0-bluestein_single_fwd_len1428_dim1_dp_op_CI_CI
                                        ; -- End function
	.section	.AMDGPU.csdata,"",@progbits
; Kernel info:
; codeLenInByte = 26460
; NumSgprs: 62
; NumVgprs: 256
; ScratchSize: 544
; MemoryBound: 0
; FloatMode: 240
; IeeeMode: 1
; LDSByteSize: 22848 bytes/workgroup (compile time only)
; SGPRBlocks: 7
; VGPRBlocks: 31
; NumSGPRsForWavesPerEU: 62
; NumVGPRsForWavesPerEU: 256
; Occupancy: 5
; WaveLimiterHint : 1
; COMPUTE_PGM_RSRC2:SCRATCH_EN: 1
; COMPUTE_PGM_RSRC2:USER_SGPR: 2
; COMPUTE_PGM_RSRC2:TRAP_HANDLER: 0
; COMPUTE_PGM_RSRC2:TGID_X_EN: 1
; COMPUTE_PGM_RSRC2:TGID_Y_EN: 0
; COMPUTE_PGM_RSRC2:TGID_Z_EN: 0
; COMPUTE_PGM_RSRC2:TIDIG_COMP_CNT: 0
	.text
	.p2alignl 7, 3214868480
	.fill 96, 4, 3214868480
	.type	__hip_cuid_c802d2d0f973034a,@object ; @__hip_cuid_c802d2d0f973034a
	.section	.bss,"aw",@nobits
	.globl	__hip_cuid_c802d2d0f973034a
__hip_cuid_c802d2d0f973034a:
	.byte	0                               ; 0x0
	.size	__hip_cuid_c802d2d0f973034a, 1

	.ident	"AMD clang version 19.0.0git (https://github.com/RadeonOpenCompute/llvm-project roc-6.4.0 25133 c7fe45cf4b819c5991fe208aaa96edf142730f1d)"
	.section	".note.GNU-stack","",@progbits
	.addrsig
	.addrsig_sym __hip_cuid_c802d2d0f973034a
	.amdgpu_metadata
---
amdhsa.kernels:
  - .args:
      - .actual_access:  read_only
        .address_space:  global
        .offset:         0
        .size:           8
        .value_kind:     global_buffer
      - .actual_access:  read_only
        .address_space:  global
        .offset:         8
        .size:           8
        .value_kind:     global_buffer
      - .actual_access:  read_only
        .address_space:  global
        .offset:         16
        .size:           8
        .value_kind:     global_buffer
      - .actual_access:  read_only
        .address_space:  global
        .offset:         24
        .size:           8
        .value_kind:     global_buffer
      - .actual_access:  read_only
        .address_space:  global
        .offset:         32
        .size:           8
        .value_kind:     global_buffer
      - .offset:         40
        .size:           8
        .value_kind:     by_value
      - .address_space:  global
        .offset:         48
        .size:           8
        .value_kind:     global_buffer
      - .address_space:  global
        .offset:         56
        .size:           8
        .value_kind:     global_buffer
      - .address_space:  global
        .offset:         64
        .size:           8
        .value_kind:     global_buffer
      - .address_space:  global
        .offset:         72
        .size:           8
        .value_kind:     global_buffer
      - .offset:         80
        .size:           4
        .value_kind:     by_value
      - .address_space:  global
        .offset:         88
        .size:           8
        .value_kind:     global_buffer
      - .address_space:  global
        .offset:         96
        .size:           8
        .value_kind:     global_buffer
    .group_segment_fixed_size: 22848
    .kernarg_segment_align: 8
    .kernarg_segment_size: 104
    .language:       OpenCL C
    .language_version:
      - 2
      - 0
    .max_flat_workgroup_size: 119
    .name:           bluestein_single_fwd_len1428_dim1_dp_op_CI_CI
    .private_segment_fixed_size: 544
    .sgpr_count:     62
    .sgpr_spill_count: 0
    .symbol:         bluestein_single_fwd_len1428_dim1_dp_op_CI_CI.kd
    .uniform_work_group_size: 1
    .uses_dynamic_stack: false
    .vgpr_count:     256
    .vgpr_spill_count: 194
    .wavefront_size: 32
    .workgroup_processor_mode: 1
amdhsa.target:   amdgcn-amd-amdhsa--gfx1201
amdhsa.version:
  - 1
  - 2
...

	.end_amdgpu_metadata
